;; amdgpu-corpus repo=ROCm/rocFFT kind=compiled arch=gfx906 opt=O3
	.text
	.amdgcn_target "amdgcn-amd-amdhsa--gfx906"
	.amdhsa_code_object_version 6
	.protected	bluestein_single_fwd_len702_dim1_sp_op_CI_CI ; -- Begin function bluestein_single_fwd_len702_dim1_sp_op_CI_CI
	.globl	bluestein_single_fwd_len702_dim1_sp_op_CI_CI
	.p2align	8
	.type	bluestein_single_fwd_len702_dim1_sp_op_CI_CI,@function
bluestein_single_fwd_len702_dim1_sp_op_CI_CI: ; @bluestein_single_fwd_len702_dim1_sp_op_CI_CI
; %bb.0:
	s_load_dwordx4 s[0:3], s[4:5], 0x28
	v_mul_u32_u24_e32 v1, 0x231, v0
	v_add_u32_sdwa v48, s6, v1 dst_sel:DWORD dst_unused:UNUSED_PAD src0_sel:DWORD src1_sel:WORD_1
	v_mov_b32_e32 v49, 0
	s_waitcnt lgkmcnt(0)
	v_cmp_gt_u64_e32 vcc, s[0:1], v[48:49]
	s_and_saveexec_b64 s[0:1], vcc
	s_cbranch_execz .LBB0_15
; %bb.1:
	s_load_dwordx2 s[8:9], s[4:5], 0x0
	s_load_dwordx2 s[10:11], s[4:5], 0x38
	s_movk_i32 s0, 0x75
	v_mul_lo_u16_sdwa v1, v1, s0 dst_sel:DWORD dst_unused:UNUSED_PAD src0_sel:WORD_1 src1_sel:DWORD
	v_sub_u16_e32 v60, v0, v1
	v_cmp_gt_u16_e64 s[0:1], 54, v60
	v_lshlrev_b32_e32 v59, 3, v60
	s_and_saveexec_b64 s[6:7], s[0:1]
	s_cbranch_execz .LBB0_3
; %bb.2:
	s_load_dwordx2 s[12:13], s[4:5], 0x18
	s_waitcnt lgkmcnt(0)
	v_mov_b32_e32 v30, s9
	s_load_dwordx4 s[12:15], s[12:13], 0x0
	s_waitcnt lgkmcnt(0)
	v_mad_u64_u32 v[0:1], s[16:17], s14, v48, 0
	v_mad_u64_u32 v[2:3], s[16:17], s12, v60, 0
	;; [unrolled: 1-line block ×4, first 2 shown]
	v_mov_b32_e32 v1, v4
	v_lshlrev_b64 v[0:1], 3, v[0:1]
	v_mov_b32_e32 v3, v5
	v_mov_b32_e32 v6, s3
	v_lshlrev_b64 v[2:3], 3, v[2:3]
	v_add_co_u32_e32 v0, vcc, s2, v0
	v_addc_co_u32_e32 v1, vcc, v6, v1, vcc
	v_add_co_u32_e32 v0, vcc, v0, v2
	s_mul_i32 s2, s13, 0x1b0
	s_mul_hi_u32 s3, s12, 0x1b0
	v_addc_co_u32_e32 v1, vcc, v1, v3, vcc
	s_add_i32 s3, s3, s2
	s_mul_i32 s2, s12, 0x1b0
	v_mov_b32_e32 v3, s3
	v_add_co_u32_e32 v2, vcc, s2, v0
	v_addc_co_u32_e32 v3, vcc, v1, v3, vcc
	v_mov_b32_e32 v5, s3
	v_add_co_u32_e32 v4, vcc, s2, v2
	v_addc_co_u32_e32 v5, vcc, v3, v5, vcc
	;; [unrolled: 3-line block ×3, first 2 shown]
	global_load_dwordx2 v[8:9], v[0:1], off
	global_load_dwordx2 v[10:11], v[2:3], off
	;; [unrolled: 1-line block ×4, first 2 shown]
	global_load_dwordx2 v[16:17], v59, s[8:9]
	global_load_dwordx2 v[18:19], v59, s[8:9] offset:432
	global_load_dwordx2 v[20:21], v59, s[8:9] offset:864
	;; [unrolled: 1-line block ×3, first 2 shown]
	v_mov_b32_e32 v1, s3
	v_add_co_u32_e32 v0, vcc, s2, v6
	v_addc_co_u32_e32 v1, vcc, v7, v1, vcc
	global_load_dwordx2 v[2:3], v[0:1], off
	v_mov_b32_e32 v4, s3
	v_add_co_u32_e32 v0, vcc, s2, v0
	v_addc_co_u32_e32 v1, vcc, v1, v4, vcc
	v_add_co_u32_e32 v44, vcc, s8, v59
	v_addc_co_u32_e32 v45, vcc, 0, v30, vcc
	global_load_dwordx2 v[4:5], v[0:1], off
	v_mov_b32_e32 v30, s3
	v_add_co_u32_e32 v0, vcc, s2, v0
	v_addc_co_u32_e32 v1, vcc, v1, v30, vcc
	v_mov_b32_e32 v31, s3
	v_add_co_u32_e32 v30, vcc, s2, v0
	v_addc_co_u32_e32 v31, vcc, v1, v31, vcc
	global_load_dwordx2 v[6:7], v59, s[8:9] offset:1728
	global_load_dwordx2 v[24:25], v59, s[8:9] offset:2160
	global_load_dwordx2 v[26:27], v59, s[8:9] offset:2592
	global_load_dwordx2 v[28:29], v59, s[8:9] offset:3024
	global_load_dwordx2 v[32:33], v[0:1], off
	global_load_dwordx2 v[34:35], v[30:31], off
	v_mov_b32_e32 v1, s3
	v_add_co_u32_e32 v0, vcc, s2, v30
	v_addc_co_u32_e32 v1, vcc, v31, v1, vcc
	global_load_dwordx2 v[30:31], v[0:1], off
	v_mov_b32_e32 v36, s3
	v_add_co_u32_e32 v0, vcc, s2, v0
	v_addc_co_u32_e32 v1, vcc, v1, v36, vcc
	global_load_dwordx2 v[36:37], v[0:1], off
	global_load_dwordx2 v[38:39], v59, s[8:9] offset:3456
	global_load_dwordx2 v[40:41], v59, s[8:9] offset:3888
	v_mov_b32_e32 v42, s3
	v_add_co_u32_e32 v0, vcc, s2, v0
	v_addc_co_u32_e32 v1, vcc, v1, v42, vcc
	s_movk_i32 s12, 0x1000
	v_add_co_u32_e32 v44, vcc, s12, v44
	v_addc_co_u32_e32 v45, vcc, 0, v45, vcc
	global_load_dwordx2 v[42:43], v[0:1], off
	v_mov_b32_e32 v49, s3
	v_add_co_u32_e32 v0, vcc, s2, v0
	v_addc_co_u32_e32 v1, vcc, v1, v49, vcc
	global_load_dwordx2 v[46:47], v[44:45], off offset:224
	v_mov_b32_e32 v53, s3
	global_load_dwordx2 v[49:50], v[0:1], off
	global_load_dwordx2 v[51:52], v[44:45], off offset:656
	v_add_co_u32_e32 v0, vcc, s2, v0
	v_addc_co_u32_e32 v1, vcc, v1, v53, vcc
	global_load_dwordx2 v[53:54], v[0:1], off
	global_load_dwordx2 v[55:56], v[44:45], off offset:1088
	v_add_u32_e32 v44, 0x400, v59
	s_waitcnt vmcnt(21)
	v_mul_f32_e32 v0, v9, v17
	v_mul_f32_e32 v1, v8, v17
	v_fmac_f32_e32 v0, v8, v16
	s_waitcnt vmcnt(20)
	v_mul_f32_e32 v8, v10, v19
	v_fma_f32 v1, v9, v16, -v1
	v_fma_f32 v9, v11, v18, -v8
	v_mul_f32_e32 v8, v11, v19
	v_fmac_f32_e32 v8, v10, v18
	ds_write2_b64 v59, v[0:1], v[8:9] offset1:54
	s_waitcnt vmcnt(19)
	v_mul_f32_e32 v0, v13, v21
	v_mul_f32_e32 v1, v12, v21
	v_fmac_f32_e32 v0, v12, v20
	v_fma_f32 v1, v13, v20, -v1
	s_waitcnt vmcnt(18)
	v_mul_f32_e32 v8, v15, v23
	v_mul_f32_e32 v9, v14, v23
	v_fmac_f32_e32 v8, v14, v22
	v_fma_f32 v9, v15, v22, -v9
	;; [unrolled: 5-line block ×4, first 2 shown]
	ds_write2_b64 v44, v[10:11], v[2:3] offset0:88 offset1:142
	ds_write2_b64 v59, v[0:1], v[8:9] offset0:108 offset1:162
	s_waitcnt vmcnt(11)
	v_mul_f32_e32 v0, v33, v27
	v_mul_f32_e32 v1, v32, v27
	s_waitcnt vmcnt(10)
	v_mul_f32_e32 v2, v35, v29
	v_mul_f32_e32 v3, v34, v29
	v_fmac_f32_e32 v0, v32, v26
	v_fma_f32 v1, v33, v26, -v1
	v_fmac_f32_e32 v2, v34, v28
	v_fma_f32 v3, v35, v28, -v3
	v_add_u32_e32 v4, 0x800, v59
	ds_write2_b64 v4, v[0:1], v[2:3] offset0:68 offset1:122
	s_waitcnt vmcnt(7)
	v_mul_f32_e32 v0, v31, v39
	v_mul_f32_e32 v1, v30, v39
	s_waitcnt vmcnt(6)
	v_mul_f32_e32 v2, v37, v41
	v_mul_f32_e32 v3, v36, v41
	v_fmac_f32_e32 v0, v30, v38
	v_fma_f32 v1, v31, v38, -v1
	v_fmac_f32_e32 v2, v36, v40
	v_fma_f32 v3, v37, v40, -v3
	ds_write2_b64 v4, v[0:1], v[2:3] offset0:176 offset1:230
	v_add_u32_e32 v4, 0x1000, v59
	s_waitcnt vmcnt(4)
	v_mul_f32_e32 v0, v43, v47
	v_mul_f32_e32 v1, v42, v47
	s_waitcnt vmcnt(2)
	v_mul_f32_e32 v2, v50, v52
	v_mul_f32_e32 v3, v49, v52
	v_fmac_f32_e32 v0, v42, v46
	v_fma_f32 v1, v43, v46, -v1
	v_fmac_f32_e32 v2, v49, v51
	v_fma_f32 v3, v50, v51, -v3
	ds_write2_b64 v4, v[0:1], v[2:3] offset0:28 offset1:82
	s_waitcnt vmcnt(0)
	v_mul_f32_e32 v0, v54, v56
	v_mul_f32_e32 v1, v53, v56
	v_fmac_f32_e32 v0, v53, v55
	v_fma_f32 v1, v54, v55, -v1
	ds_write_b64 v59, v[0:1] offset:5184
.LBB0_3:
	s_or_b64 exec, exec, s[6:7]
	s_load_dwordx2 s[6:7], s[4:5], 0x20
	s_load_dwordx2 s[2:3], s[4:5], 0x8
	v_mov_b32_e32 v12, 0
	v_mov_b32_e32 v13, 0
	s_waitcnt lgkmcnt(0)
	s_barrier
	s_waitcnt lgkmcnt(0)
                                        ; implicit-def: $vgpr18
                                        ; implicit-def: $vgpr24
                                        ; implicit-def: $vgpr32
                                        ; implicit-def: $vgpr36
                                        ; implicit-def: $vgpr30
                                        ; implicit-def: $vgpr22
	s_and_saveexec_b64 s[4:5], s[0:1]
	s_cbranch_execz .LBB0_5
; %bb.4:
	v_add_u32_e32 v0, 0x400, v59
	ds_read2_b64 v[12:15], v59 offset1:54
	ds_read2_b64 v[20:23], v59 offset0:108 offset1:162
	ds_read2_b64 v[28:31], v0 offset0:88 offset1:142
	v_add_u32_e32 v0, 0x800, v59
	ds_read2_b64 v[16:19], v0 offset0:68 offset1:122
	ds_read2_b64 v[24:27], v0 offset0:176 offset1:230
	v_add_u32_e32 v0, 0x1000, v59
	ds_read2_b64 v[32:35], v0 offset0:28 offset1:82
	ds_read_b64 v[36:37], v59 offset:5184
.LBB0_5:
	s_or_b64 exec, exec, s[4:5]
	s_waitcnt lgkmcnt(0)
	v_sub_f32_e32 v8, v15, v37
	v_mul_f32_e32 v38, 0xbeedf032, v8
	v_sub_f32_e32 v9, v21, v35
	v_add_f32_e32 v47, v36, v14
	v_mov_b32_e32 v0, v38
	v_mul_f32_e32 v39, 0xbf52af12, v9
	v_fmac_f32_e32 v0, 0x3f62ad3f, v47
	v_add_f32_e32 v46, v34, v20
	v_mov_b32_e32 v1, v39
	v_sub_f32_e32 v10, v14, v36
	v_add_f32_e32 v51, v37, v15
	v_add_f32_e32 v0, v0, v12
	v_fmac_f32_e32 v1, 0x3f116cb1, v46
	s_mov_b32 s4, 0x3f62ad3f
	v_mul_f32_e32 v40, 0xbeedf032, v10
	v_sub_f32_e32 v11, v20, v34
	v_add_f32_e32 v0, v1, v0
	v_fma_f32 v1, v51, s4, -v40
	s_mov_b32 s5, 0x3f116cb1
	v_add_f32_e32 v52, v35, v21
	v_mul_f32_e32 v41, 0xbf52af12, v11
	v_sub_f32_e32 v62, v23, v33
	v_add_f32_e32 v1, v1, v13
	v_fma_f32 v2, v52, s5, -v41
	v_mul_f32_e32 v42, 0xbf7e222b, v62
	v_add_f32_e32 v1, v2, v1
	v_add_f32_e32 v54, v32, v22
	v_mov_b32_e32 v2, v42
	v_sub_f32_e32 v116, v22, v32
	v_fmac_f32_e32 v2, 0x3df6dbef, v54
	s_mov_b32 s12, 0x3df6dbef
	v_add_f32_e32 v56, v33, v23
	v_mul_f32_e32 v43, 0xbf7e222b, v116
	v_sub_f32_e32 v117, v29, v27
	v_add_f32_e32 v0, v2, v0
	v_fma_f32 v2, v56, s12, -v43
	v_mul_f32_e32 v44, 0xbf6f5d39, v117
	v_add_f32_e32 v1, v2, v1
	v_add_f32_e32 v57, v26, v28
	v_mov_b32_e32 v2, v44
	v_sub_f32_e32 v118, v28, v26
	v_fmac_f32_e32 v2, 0xbeb58ec6, v57
	;; [unrolled: 12-line block ×3, first 2 shown]
	s_mov_b32 s14, 0xbf3f9e67
	v_add_f32_e32 v66, v25, v31
	v_mul_f32_e32 v55, 0xbf29c268, v120
	v_sub_f32_e32 v121, v17, v19
	v_add_f32_e32 v0, v2, v0
	v_fma_f32 v2, v66, s14, -v55
	v_mul_f32_e32 v58, 0xbe750f2a, v121
	v_add_f32_e32 v1, v2, v1
	v_add_f32_e32 v75, v18, v16
	v_mov_b32_e32 v2, v58
	v_sub_f32_e32 v122, v16, v18
	s_mov_b32 s15, 0xbf788fa5
	v_fmac_f32_e32 v2, 0xbf788fa5, v75
	v_add_f32_e32 v78, v19, v17
	v_mul_f32_e32 v63, 0xbe750f2a, v122
	v_add_f32_e32 v49, v2, v0
	v_fma_f32 v0, v78, s15, -v63
	v_mul_f32_e32 v65, 0xbf52af12, v8
	v_add_f32_e32 v50, v0, v1
	v_mov_b32_e32 v0, v65
	v_mul_f32_e32 v67, 0xbf6f5d39, v9
	v_fmac_f32_e32 v0, 0x3f116cb1, v47
	v_mov_b32_e32 v1, v67
	v_add_f32_e32 v0, v0, v12
	v_fmac_f32_e32 v1, 0xbeb58ec6, v46
	v_mul_f32_e32 v70, 0xbf52af12, v10
	v_add_f32_e32 v0, v1, v0
	v_fma_f32 v1, v51, s5, -v70
	v_mul_f32_e32 v72, 0xbf6f5d39, v11
	v_add_f32_e32 v1, v1, v13
	v_fma_f32 v2, v52, s13, -v72
	v_mul_f32_e32 v68, 0xbe750f2a, v62
	v_add_f32_e32 v1, v2, v1
	v_mov_b32_e32 v2, v68
	v_fmac_f32_e32 v2, 0xbf788fa5, v54
	v_mul_f32_e32 v74, 0xbe750f2a, v116
	v_add_f32_e32 v0, v2, v0
	v_fma_f32 v2, v56, s15, -v74
	v_mul_f32_e32 v69, 0x3f29c268, v117
	v_add_f32_e32 v1, v2, v1
	v_mov_b32_e32 v2, v69
	v_fmac_f32_e32 v2, 0xbf3f9e67, v57
	;; [unrolled: 7-line block ×4, first 2 shown]
	v_mul_f32_e32 v79, 0x3eedf032, v122
	v_mul_f32_e32 v80, 0xbf7e222b, v8
	v_fma_f32 v3, v78, s4, -v79
	v_add_f32_e32 v2, v2, v0
	v_mov_b32_e32 v0, v80
	v_mul_f32_e32 v81, 0xbe750f2a, v9
	v_add_f32_e32 v3, v3, v1
	v_fmac_f32_e32 v0, 0x3df6dbef, v47
	v_mov_b32_e32 v1, v81
	v_add_f32_e32 v0, v0, v12
	v_fmac_f32_e32 v1, 0xbf788fa5, v46
	v_mul_f32_e32 v82, 0x3f6f5d39, v62
	v_add_f32_e32 v0, v1, v0
	v_mov_b32_e32 v1, v82
	v_fmac_f32_e32 v1, 0xbeb58ec6, v54
	v_mul_f32_e32 v83, 0x3eedf032, v117
	v_add_f32_e32 v0, v1, v0
	v_mov_b32_e32 v1, v83
	;; [unrolled: 4-line block ×4, first 2 shown]
	v_fmac_f32_e32 v1, 0xbf3f9e67, v75
	v_mul_f32_e32 v86, 0xbf7e222b, v10
	v_add_f32_e32 v0, v1, v0
	v_fma_f32 v1, v51, s12, -v86
	v_mul_f32_e32 v87, 0xbe750f2a, v11
	v_add_f32_e32 v1, v1, v13
	v_fma_f32 v4, v52, s15, -v87
	;; [unrolled: 3-line block ×6, first 2 shown]
	v_mul_f32_e32 v92, 0xbf6f5d39, v8
	v_add_f32_e32 v1, v4, v1
	v_mov_b32_e32 v4, v92
	v_mul_f32_e32 v93, 0x3f29c268, v9
	v_fmac_f32_e32 v4, 0xbeb58ec6, v47
	v_mov_b32_e32 v5, v93
	v_add_f32_e32 v4, v4, v12
	v_fmac_f32_e32 v5, 0xbf3f9e67, v46
	v_mul_f32_e32 v98, 0xbf6f5d39, v10
	v_add_f32_e32 v4, v5, v4
	v_fma_f32 v5, v51, s13, -v98
	v_mul_f32_e32 v99, 0x3f29c268, v11
	v_add_f32_e32 v5, v5, v13
	v_fma_f32 v6, v52, s14, -v99
	v_mul_f32_e32 v94, 0x3eedf032, v62
	v_add_f32_e32 v5, v6, v5
	v_mov_b32_e32 v6, v94
	v_fmac_f32_e32 v6, 0x3f62ad3f, v54
	v_mul_f32_e32 v100, 0x3eedf032, v116
	v_add_f32_e32 v4, v6, v4
	v_fma_f32 v6, v56, s4, -v100
	v_mul_f32_e32 v95, 0xbf7e222b, v117
	v_add_f32_e32 v5, v6, v5
	v_mov_b32_e32 v6, v95
	v_fmac_f32_e32 v6, 0x3df6dbef, v57
	;; [unrolled: 7-line block ×4, first 2 shown]
	v_mul_f32_e32 v103, 0x3f52af12, v122
	v_mul_f32_e32 v105, 0xbf29c268, v8
	v_fma_f32 v7, v78, s5, -v103
	v_add_f32_e32 v6, v6, v4
	v_mov_b32_e32 v4, v105
	v_mul_f32_e32 v109, 0x3f7e222b, v9
	v_add_f32_e32 v7, v7, v5
	v_fmac_f32_e32 v4, 0xbf3f9e67, v47
	v_mov_b32_e32 v5, v109
	v_add_f32_e32 v4, v4, v12
	v_fmac_f32_e32 v5, 0x3df6dbef, v46
	v_mul_f32_e32 v106, 0xbf52af12, v62
	v_add_f32_e32 v4, v5, v4
	v_mov_b32_e32 v5, v106
	v_fmac_f32_e32 v5, 0x3f116cb1, v54
	v_mul_f32_e32 v107, 0x3e750f2a, v117
	v_add_f32_e32 v4, v5, v4
	v_mov_b32_e32 v5, v107
	v_fmac_f32_e32 v5, 0xbf788fa5, v57
	v_mul_f32_e32 v108, 0x3eedf032, v119
	v_add_f32_e32 v4, v5, v4
	v_mov_b32_e32 v5, v108
	v_fmac_f32_e32 v5, 0x3f62ad3f, v64
	v_mul_f32_e32 v104, 0xbf6f5d39, v121
	v_add_f32_e32 v4, v5, v4
	v_mov_b32_e32 v5, v104
	v_fmac_f32_e32 v5, 0xbeb58ec6, v75
	v_mul_f32_e32 v114, 0xbf29c268, v10
	v_add_f32_e32 v4, v5, v4
	v_fma_f32 v5, v51, s14, -v114
	v_mul_f32_e32 v115, 0x3f7e222b, v11
	v_add_f32_e32 v5, v5, v13
	v_fma_f32 v110, v52, s12, -v115
	;; [unrolled: 3-line block ×5, first 2 shown]
	v_add_f32_e32 v5, v110, v5
	v_mul_f32_e32 v110, 0xbf6f5d39, v122
	v_fma_f32 v123, v78, s13, -v110
	v_add_f32_e32 v5, v123, v5
	v_mul_f32_e32 v123, 0xbe750f2a, v8
	v_fma_f32 v8, v47, s15, -v123
	v_mul_f32_e32 v124, 0x3eedf032, v9
	v_add_f32_e32 v8, v8, v12
	v_fma_f32 v9, v46, s4, -v124
	v_mul_f32_e32 v125, 0xbe750f2a, v10
	v_add_f32_e32 v8, v9, v8
	v_mov_b32_e32 v9, v125
	v_mul_f32_e32 v11, 0x3eedf032, v11
	v_fmac_f32_e32 v9, 0xbf788fa5, v51
	v_mov_b32_e32 v10, v11
	v_add_f32_e32 v9, v9, v13
	v_fmac_f32_e32 v10, 0x3f62ad3f, v52
	v_add_f32_e32 v9, v10, v9
	v_mul_f32_e32 v10, 0xbf29c268, v62
	v_fma_f32 v62, v54, s14, -v10
	v_add_f32_e32 v8, v62, v8
	v_mul_f32_e32 v62, 0xbf29c268, v116
	v_mov_b32_e32 v116, v62
	v_fmac_f32_e32 v116, 0xbf3f9e67, v56
	v_add_f32_e32 v9, v116, v9
	v_mul_f32_e32 v116, 0x3f52af12, v117
	v_fma_f32 v117, v57, s5, -v116
	v_add_f32_e32 v8, v117, v8
	v_mul_f32_e32 v117, 0x3f52af12, v118
	v_mov_b32_e32 v118, v117
	v_fmac_f32_e32 v118, 0x3f116cb1, v61
	v_add_f32_e32 v9, v118, v9
	v_mul_f32_e32 v118, 0xbf6f5d39, v119
	v_fma_f32 v119, v64, s13, -v118
	v_add_f32_e32 v8, v119, v8
	v_mul_f32_e32 v119, 0xbf6f5d39, v120
	v_mov_b32_e32 v120, v119
	v_fmac_f32_e32 v120, 0xbeb58ec6, v66
	v_add_f32_e32 v9, v120, v9
	v_mul_f32_e32 v120, 0x3f7e222b, v121
	v_mul_f32_e32 v121, 0x3f7e222b, v122
	v_mov_b32_e32 v122, v121
	v_fmac_f32_e32 v122, 0x3df6dbef, v78
	v_fmac_f32_e32 v123, 0xbf788fa5, v47
	v_add_f32_e32 v9, v122, v9
	v_add_f32_e32 v122, v123, v12
	v_fmac_f32_e32 v124, 0x3f62ad3f, v46
	v_add_f32_e32 v122, v124, v122
	v_fmac_f32_e32 v10, 0xbf3f9e67, v54
	v_add_f32_e32 v10, v10, v122
	v_fmac_f32_e32 v116, 0x3f116cb1, v57
	v_add_f32_e32 v10, v116, v10
	v_fma_f32 v116, v51, s15, -v125
	v_add_f32_e32 v116, v116, v13
	v_fma_f32 v11, v52, s4, -v11
	;; [unrolled: 2-line block ×4, first 2 shown]
	v_fmac_f32_e32 v118, 0xbeb58ec6, v64
	v_add_f32_e32 v11, v62, v11
	v_fma_f32 v62, v66, s13, -v119
	v_fma_f32 v126, v75, s12, -v120
	v_add_f32_e32 v10, v118, v10
	v_fmac_f32_e32 v120, 0x3df6dbef, v75
	v_add_f32_e32 v11, v62, v11
	v_fma_f32 v62, v78, s12, -v121
	v_add_f32_e32 v8, v126, v8
	v_add_f32_e32 v10, v120, v10
	;; [unrolled: 1-line block ×3, first 2 shown]
	v_mul_lo_u16_e32 v62, 13, v60
	s_barrier
	s_and_saveexec_b64 s[4:5], s[0:1]
	s_cbranch_execz .LBB0_7
; %bb.6:
	v_mul_f32_e32 v117, 0x3f62ad3f, v51
	v_mul_f32_e32 v119, 0x3f116cb1, v51
	;; [unrolled: 1-line block ×5, first 2 shown]
	v_add_f32_e32 v51, v114, v51
	v_mul_f32_e32 v114, 0x3df6dbef, v52
	v_add_f32_e32 v114, v115, v114
	v_add_f32_e32 v51, v51, v13
	;; [unrolled: 1-line block ×3, first 2 shown]
	v_mul_f32_e32 v114, 0x3f116cb1, v56
	v_add_f32_e32 v113, v113, v114
	v_add_f32_e32 v51, v113, v51
	v_mul_f32_e32 v113, 0xbf788fa5, v61
	v_add_f32_e32 v112, v112, v113
	v_mul_f32_e32 v116, 0x3f62ad3f, v47
	v_mul_f32_e32 v118, 0x3f116cb1, v47
	;; [unrolled: 1-line block ×5, first 2 shown]
	v_add_f32_e32 v51, v112, v51
	v_mul_f32_e32 v112, 0x3f62ad3f, v66
	v_mul_f32_e32 v124, 0x3f116cb1, v46
	;; [unrolled: 1-line block ×4, first 2 shown]
	v_add_f32_e32 v111, v111, v112
	v_mul_f32_e32 v112, 0xbf3f9e67, v46
	v_mul_f32_e32 v46, 0x3df6dbef, v46
	v_sub_f32_e32 v47, v47, v105
	v_sub_f32_e32 v46, v46, v109
	v_add_f32_e32 v47, v47, v12
	v_add_f32_e32 v46, v46, v47
	v_mul_f32_e32 v47, 0x3f116cb1, v54
	v_sub_f32_e32 v47, v47, v106
	v_add_f32_e32 v46, v47, v46
	v_mul_f32_e32 v47, 0xbf788fa5, v57
	v_sub_f32_e32 v47, v47, v107
	v_add_f32_e32 v46, v47, v46
	v_mul_f32_e32 v47, 0x3f62ad3f, v64
	v_add_f32_e32 v51, v111, v51
	v_mul_f32_e32 v111, 0xbeb58ec6, v78
	v_sub_f32_e32 v47, v47, v108
	v_add_f32_e32 v110, v110, v111
	v_add_f32_e32 v46, v47, v46
	v_mul_f32_e32 v47, 0xbeb58ec6, v75
	v_mul_f32_e32 v125, 0x3f116cb1, v52
	;; [unrolled: 1-line block ×5, first 2 shown]
	v_sub_f32_e32 v104, v47, v104
	v_add_f32_e32 v47, v110, v51
	v_add_f32_e32 v51, v98, v123
	v_mul_f32_e32 v105, 0x3df6dbef, v56
	v_mul_f32_e32 v106, 0xbf788fa5, v56
	;; [unrolled: 1-line block ×4, first 2 shown]
	v_add_f32_e32 v52, v99, v52
	v_add_f32_e32 v51, v51, v13
	;; [unrolled: 1-line block ×3, first 2 shown]
	v_mul_f32_e32 v52, 0x3df6dbef, v61
	v_add_f32_e32 v56, v100, v56
	v_add_f32_e32 v51, v56, v51
	;; [unrolled: 1-line block ×4, first 2 shown]
	v_mul_f32_e32 v52, 0xbf788fa5, v66
	v_add_f32_e32 v52, v102, v52
	v_sub_f32_e32 v92, v122, v92
	v_mul_f32_e32 v111, 0x3df6dbef, v54
	v_mul_f32_e32 v109, 0xbf788fa5, v54
	v_mul_f32_e32 v107, 0xbeb58ec6, v54
	v_mul_f32_e32 v54, 0x3f62ad3f, v54
	v_add_f32_e32 v51, v52, v51
	v_mul_f32_e32 v52, 0x3f116cb1, v78
	v_sub_f32_e32 v93, v112, v93
	v_add_f32_e32 v92, v92, v12
	v_mul_f32_e32 v127, 0xbeb58ec6, v57
	v_mul_f32_e32 v110, 0xbf3f9e67, v57
	;; [unrolled: 1-line block ×4, first 2 shown]
	v_add_f32_e32 v52, v103, v52
	v_add_f32_e32 v92, v93, v92
	v_sub_f32_e32 v54, v54, v94
	v_add_f32_e32 v46, v104, v46
	v_mul_f32_e32 v104, 0xbeb58ec6, v61
	v_mul_f32_e32 v98, 0xbf3f9e67, v61
	;; [unrolled: 1-line block ×7, first 2 shown]
	v_add_f32_e32 v54, v54, v92
	v_add_f32_e32 v52, v52, v51
	v_sub_f32_e32 v51, v57, v95
	v_mul_f32_e32 v103, 0xbf788fa5, v75
	v_mul_f32_e32 v93, 0x3f62ad3f, v75
	;; [unrolled: 1-line block ×4, first 2 shown]
	v_add_f32_e32 v51, v51, v54
	v_sub_f32_e32 v54, v64, v96
	v_add_f32_e32 v51, v54, v51
	v_sub_f32_e32 v54, v75, v97
	v_add_f32_e32 v51, v54, v51
	v_add_f32_e32 v54, v86, v121
	;; [unrolled: 1-line block ×6, first 2 shown]
	v_mul_f32_e32 v100, 0xbf3f9e67, v66
	v_mul_f32_e32 v102, 0x3df6dbef, v66
	v_mul_f32_e32 v66, 0x3f116cb1, v66
	v_add_f32_e32 v54, v57, v54
	v_add_f32_e32 v57, v89, v123
	v_mul_f32_e32 v112, 0xbf788fa5, v78
	v_mul_f32_e32 v94, 0x3f62ad3f, v78
	;; [unrolled: 1-line block ×3, first 2 shown]
	v_add_f32_e32 v54, v57, v54
	v_add_f32_e32 v57, v90, v66
	;; [unrolled: 1-line block ×5, first 2 shown]
	v_sub_f32_e32 v54, v120, v80
	v_add_f32_e32 v54, v54, v12
	v_sub_f32_e32 v64, v114, v81
	v_add_f32_e32 v54, v64, v54
	;; [unrolled: 2-line block ×6, first 2 shown]
	v_add_f32_e32 v54, v70, v119
	v_add_f32_e32 v54, v54, v13
	v_add_f32_e32 v64, v72, v115
	v_add_f32_e32 v54, v64, v54
	v_add_f32_e32 v64, v74, v106
	v_add_f32_e32 v54, v64, v54
	v_add_f32_e32 v64, v76, v98
	v_add_f32_e32 v54, v64, v54
	v_add_f32_e32 v64, v77, v102
	v_add_f32_e32 v54, v64, v54
	v_add_f32_e32 v64, v79, v94
	v_add_f32_e32 v66, v64, v54
	v_sub_f32_e32 v54, v118, v65
	v_add_f32_e32 v40, v40, v117
	v_sub_f32_e32 v38, v116, v38
	v_add_f32_e32 v54, v54, v12
	v_add_f32_e32 v40, v40, v13
	;; [unrolled: 1-line block ×16, first 2 shown]
	v_sub_f32_e32 v39, v124, v39
	v_add_f32_e32 v13, v19, v13
	v_add_f32_e32 v12, v18, v12
	v_sub_f32_e32 v64, v126, v67
	v_add_f32_e32 v40, v41, v40
	v_add_f32_e32 v41, v43, v105
	v_add_f32_e32 v38, v39, v38
	v_sub_f32_e32 v39, v111, v42
	v_add_f32_e32 v13, v25, v13
	v_add_f32_e32 v12, v24, v12
	v_add_f32_e32 v54, v64, v54
	v_sub_f32_e32 v64, v109, v68
	v_add_f32_e32 v40, v41, v40
	v_add_f32_e32 v41, v45, v104
	v_add_f32_e32 v38, v39, v38
	v_sub_f32_e32 v39, v127, v44
	v_add_f32_e32 v13, v27, v13
	v_add_f32_e32 v12, v26, v12
	v_add_f32_e32 v54, v64, v54
	v_sub_f32_e32 v64, v110, v69
	v_add_f32_e32 v40, v41, v40
	v_add_f32_e32 v41, v55, v100
	v_add_f32_e32 v38, v39, v38
	v_sub_f32_e32 v39, v61, v53
	v_add_f32_e32 v13, v33, v13
	v_add_f32_e32 v12, v32, v12
	v_add_f32_e32 v54, v64, v54
	v_sub_f32_e32 v64, v101, v71
	v_add_f32_e32 v40, v41, v40
	v_add_f32_e32 v41, v63, v112
	v_add_f32_e32 v38, v39, v38
	v_sub_f32_e32 v39, v103, v58
	v_add_f32_e32 v13, v35, v13
	v_add_f32_e32 v12, v34, v12
	v_add_f32_e32 v54, v64, v54
	v_sub_f32_e32 v64, v93, v73
	v_add_f32_e32 v40, v41, v40
	v_add_f32_e32 v39, v39, v38
	v_add_f32_e32 v13, v37, v13
	;; [unrolled: 1-line block ×3, first 2 shown]
	v_lshlrev_b32_e32 v14, 3, v62
	v_add_f32_e32 v65, v64, v54
	ds_write2_b64 v14, v[12:13], v[39:40] offset1:1
	ds_write2_b64 v14, v[65:66], v[56:57] offset0:2 offset1:3
	ds_write2_b64 v14, v[51:52], v[46:47] offset0:4 offset1:5
	;; [unrolled: 1-line block ×5, first 2 shown]
	ds_write_b64 v14, v[49:50] offset:96
.LBB0_7:
	s_or_b64 exec, exec, s[4:5]
	s_movk_i32 s12, 0x4f
	v_mul_lo_u16_sdwa v12, v60, s12 dst_sel:DWORD dst_unused:UNUSED_PAD src0_sel:BYTE_0 src1_sel:DWORD
	v_lshrrev_b16_e32 v32, 10, v12
	v_add_co_u32_e32 v40, vcc, 0x75, v60
	v_mul_lo_u16_e32 v12, 13, v32
	v_sub_u16_e32 v12, v60, v12
	v_mul_lo_u16_sdwa v13, v40, s12 dst_sel:DWORD dst_unused:UNUSED_PAD src0_sel:BYTE_0 src1_sel:DWORD
	v_and_b32_e32 v33, 0xff, v12
	v_lshrrev_b16_e32 v34, 10, v13
	v_lshlrev_b32_e32 v12, 4, v33
	v_mul_lo_u16_e32 v13, 13, v34
	s_load_dwordx4 s[4:7], s[6:7], 0x0
	s_waitcnt lgkmcnt(0)
	s_barrier
	global_load_dwordx4 v[16:19], v12, s[2:3]
	v_sub_u16_e32 v12, v40, v13
	v_and_b32_e32 v35, 0xff, v12
	v_lshlrev_b32_e32 v12, 4, v35
	global_load_dwordx4 v[12:15], v12, s[2:3]
	v_mov_b32_e32 v20, 3
	v_lshlrev_b32_sdwa v61, v20, v60 dst_sel:DWORD dst_unused:UNUSED_PAD src0_sel:DWORD src1_sel:WORD_0
	s_movk_i32 s12, 0xa5
	v_add_u32_e32 v53, 0x400, v61
	v_mul_lo_u16_sdwa v36, v60, s12 dst_sel:DWORD dst_unused:UNUSED_PAD src0_sel:BYTE_0 src1_sel:DWORD
	ds_read2_b64 v[20:23], v61 offset1:117
	v_add_u32_e32 v54, 0xc00, v61
	ds_read2_b64 v[24:27], v53 offset0:106 offset1:223
	ds_read2_b64 v[28:31], v54 offset0:84 offset1:201
	v_sub_u16_sdwa v37, v60, v36 dst_sel:DWORD dst_unused:UNUSED_PAD src0_sel:DWORD src1_sel:BYTE_1
	v_lshrrev_b16_e32 v37, 1, v37
	v_and_b32_e32 v37, 0x7f, v37
	v_mul_u32_u24_e32 v32, 39, v32
	v_mul_u32_u24_e32 v34, 39, v34
	v_add_u16_sdwa v36, v37, v36 dst_sel:DWORD dst_unused:UNUSED_PAD src0_sel:DWORD src1_sel:BYTE_1
	v_add_lshl_u32 v64, v32, v33, 3
	v_add_lshl_u32 v63, v34, v35, 3
	v_lshrrev_b16_e32 v32, 5, v36
	s_waitcnt vmcnt(0) lgkmcnt(0)
	s_barrier
	v_mul_f32_e32 v33, v25, v17
	v_mul_f32_e32 v34, v24, v17
	;; [unrolled: 1-line block ×8, first 2 shown]
	v_fma_f32 v24, v24, v16, -v33
	v_fmac_f32_e32 v34, v25, v16
	v_fma_f32 v25, v28, v18, -v35
	v_fmac_f32_e32 v36, v29, v18
	v_fma_f32 v26, v26, v12, -v37
	v_fmac_f32_e32 v38, v27, v12
	v_fma_f32 v27, v30, v14, -v39
	v_fmac_f32_e32 v41, v31, v14
	v_add_f32_e32 v29, v24, v25
	v_add_f32_e32 v31, v34, v36
	;; [unrolled: 1-line block ×3, first 2 shown]
	v_sub_f32_e32 v39, v38, v41
	v_add_f32_e32 v42, v23, v38
	v_add_f32_e32 v38, v38, v41
	;; [unrolled: 1-line block ×3, first 2 shown]
	v_sub_f32_e32 v33, v34, v36
	v_add_f32_e32 v30, v21, v34
	v_sub_f32_e32 v34, v24, v25
	v_add_f32_e32 v35, v22, v26
	v_fma_f32 v20, -0.5, v29, v20
	v_fma_f32 v21, -0.5, v31, v21
	v_fma_f32 v22, -0.5, v37, v22
	v_fmac_f32_e32 v23, -0.5, v38
	v_sub_f32_e32 v43, v26, v27
	v_add_f32_e32 v24, v28, v25
	v_add_f32_e32 v25, v30, v36
	;; [unrolled: 1-line block ×4, first 2 shown]
	v_mov_b32_e32 v28, v20
	v_fmac_f32_e32 v20, 0xbf5db3d7, v33
	v_mov_b32_e32 v29, v21
	v_fmac_f32_e32 v21, 0x3f5db3d7, v34
	v_mov_b32_e32 v30, v22
	v_mov_b32_e32 v31, v23
	v_and_b32_e32 v41, 7, v32
	v_fmac_f32_e32 v22, 0xbf5db3d7, v39
	v_fmac_f32_e32 v23, 0x3f5db3d7, v43
	;; [unrolled: 1-line block ×6, first 2 shown]
	ds_write_b64 v64, v[20:21] offset:208
	ds_write2_b64 v64, v[24:25], v[28:29] offset1:13
	ds_write2_b64 v63, v[26:27], v[30:31] offset1:13
	ds_write_b64 v63, v[22:23] offset:208
	v_mul_lo_u16_e32 v20, 39, v41
	v_sub_u16_e32 v20, v60, v20
	v_and_b32_e32 v42, 0xff, v20
	v_mad_u64_u32 v[28:29], s[12:13], v42, 40, s[2:3]
	s_waitcnt lgkmcnt(0)
	s_barrier
	global_load_dwordx4 v[24:27], v[28:29], off offset:208
	global_load_dwordx4 v[20:23], v[28:29], off offset:224
	global_load_dwordx2 v[51:52], v[28:29], off offset:240
	ds_read2_b64 v[28:31], v61 offset1:117
	ds_read2_b64 v[32:35], v53 offset0:106 offset1:223
	ds_read2_b64 v[36:39], v54 offset0:84 offset1:201
	s_movk_i32 s12, 0xea
	v_mul_u32_u24_sdwa v41, v41, s12 dst_sel:DWORD dst_unused:UNUSED_PAD src0_sel:WORD_0 src1_sel:DWORD
	s_waitcnt vmcnt(0) lgkmcnt(0)
	s_barrier
	v_mul_f32_e32 v43, v31, v25
	v_mul_f32_e32 v44, v30, v25
	;; [unrolled: 1-line block ×10, first 2 shown]
	v_fma_f32 v43, v30, v24, -v43
	v_fmac_f32_e32 v44, v31, v24
	v_fma_f32 v30, v32, v26, -v45
	v_fmac_f32_e32 v46, v33, v26
	;; [unrolled: 2-line block ×5, first 2 shown]
	v_add_f32_e32 v34, v28, v30
	v_add_f32_e32 v35, v30, v32
	v_sub_f32_e32 v36, v46, v57
	v_add_f32_e32 v37, v29, v46
	v_add_f32_e32 v38, v46, v57
	;; [unrolled: 1-line block ×3, first 2 shown]
	v_sub_f32_e32 v46, v55, v65
	v_add_f32_e32 v47, v44, v55
	v_add_f32_e32 v55, v55, v65
	v_sub_f32_e32 v39, v30, v32
	v_add_f32_e32 v30, v43, v31
	v_sub_f32_e32 v56, v31, v33
	v_add_f32_e32 v31, v34, v32
	v_fma_f32 v34, -0.5, v35, v28
	v_fmac_f32_e32 v43, -0.5, v45
	v_fmac_f32_e32 v44, -0.5, v55
	v_add_f32_e32 v32, v37, v57
	v_fma_f32 v35, -0.5, v38, v29
	v_add_f32_e32 v30, v30, v33
	v_add_f32_e32 v33, v47, v65
	v_mov_b32_e32 v38, v34
	v_mov_b32_e32 v37, v43
	v_fmac_f32_e32 v43, 0xbf5db3d7, v46
	v_mov_b32_e32 v47, v44
	v_fmac_f32_e32 v34, 0xbf5db3d7, v36
	;; [unrolled: 2-line block ×3, first 2 shown]
	v_fmac_f32_e32 v38, 0x3f5db3d7, v36
	v_fmac_f32_e32 v37, 0x3f5db3d7, v46
	;; [unrolled: 1-line block ×3, first 2 shown]
	v_mul_f32_e32 v36, -0.5, v43
	v_fmac_f32_e32 v35, 0x3f5db3d7, v39
	v_fmac_f32_e32 v45, 0xbf5db3d7, v39
	v_mul_f32_e32 v39, -0.5, v44
	v_mul_f32_e32 v46, 0x3f5db3d7, v47
	v_fmac_f32_e32 v36, 0x3f5db3d7, v44
	v_mul_f32_e32 v44, 0xbf5db3d7, v37
	v_fmac_f32_e32 v46, 0.5, v37
	v_fmac_f32_e32 v44, 0.5, v47
	v_add_f32_e32 v28, v31, v30
	v_add_f32_e32 v29, v32, v33
	v_sub_f32_e32 v30, v31, v30
	v_sub_f32_e32 v31, v32, v33
	v_fmac_f32_e32 v39, 0xbf5db3d7, v43
	v_add_f32_e32 v32, v34, v36
	v_sub_f32_e32 v34, v34, v36
	v_add_f32_e32 v36, v38, v46
	v_add_f32_e32 v37, v45, v44
	v_add_lshl_u32 v65, v41, v42, 3
	v_add_f32_e32 v33, v35, v39
	v_sub_f32_e32 v35, v35, v39
	v_sub_f32_e32 v38, v38, v46
	;; [unrolled: 1-line block ×3, first 2 shown]
	ds_write2_b64 v65, v[28:29], v[36:37] offset1:39
	ds_write2_b64 v65, v[32:33], v[30:31] offset0:78 offset1:117
	ds_write2_b64 v65, v[38:39], v[34:35] offset0:156 offset1:195
	v_lshlrev_b32_e32 v28, 4, v60
	v_lshlrev_b32_e32 v32, 4, v40
	s_waitcnt lgkmcnt(0)
	s_barrier
	global_load_dwordx4 v[28:31], v28, s[2:3] offset:1768
	s_nop 0
	global_load_dwordx4 v[32:35], v32, s[2:3] offset:1768
	ds_read2_b64 v[36:39], v53 offset0:106 offset1:223
	ds_read2_b64 v[44:47], v54 offset0:84 offset1:201
	ds_read2_b64 v[40:43], v61 offset1:117
	s_waitcnt vmcnt(1) lgkmcnt(2)
	v_mul_f32_e32 v55, v37, v29
	v_mul_f32_e32 v56, v36, v29
	s_waitcnt lgkmcnt(1)
	v_mul_f32_e32 v57, v45, v31
	v_mul_f32_e32 v58, v44, v31
	s_waitcnt vmcnt(0)
	v_mul_f32_e32 v66, v39, v33
	v_mul_f32_e32 v67, v38, v33
	;; [unrolled: 1-line block ×4, first 2 shown]
	v_fma_f32 v36, v36, v28, -v55
	v_fmac_f32_e32 v56, v37, v28
	v_fma_f32 v37, v44, v30, -v57
	v_fmac_f32_e32 v58, v45, v30
	;; [unrolled: 2-line block ×4, first 2 shown]
	s_waitcnt lgkmcnt(0)
	v_add_f32_e32 v44, v40, v36
	v_add_f32_e32 v45, v36, v37
	;; [unrolled: 1-line block ×4, first 2 shown]
	v_sub_f32_e32 v68, v67, v69
	v_add_f32_e32 v70, v43, v67
	v_add_f32_e32 v67, v67, v69
	v_sub_f32_e32 v55, v56, v58
	v_add_f32_e32 v46, v41, v56
	v_sub_f32_e32 v56, v36, v37
	v_add_f32_e32 v57, v42, v38
	v_add_f32_e32 v36, v44, v37
	v_fma_f32 v44, -0.5, v45, v40
	v_fma_f32 v45, -0.5, v47, v41
	;; [unrolled: 1-line block ×3, first 2 shown]
	v_fmac_f32_e32 v43, -0.5, v67
	v_sub_f32_e32 v71, v38, v39
	v_add_f32_e32 v37, v46, v58
	v_add_f32_e32 v46, v57, v39
	v_mov_b32_e32 v38, v44
	v_mov_b32_e32 v39, v45
	v_mov_b32_e32 v40, v42
	v_mov_b32_e32 v41, v43
	v_add_f32_e32 v47, v70, v69
	v_fmac_f32_e32 v44, 0xbf5db3d7, v55
	v_fmac_f32_e32 v45, 0x3f5db3d7, v56
	;; [unrolled: 1-line block ×8, first 2 shown]
	ds_write2_b64 v61, v[36:37], v[46:47] offset1:117
	ds_write2_b64 v54, v[44:45], v[42:43] offset0:84 offset1:201
	ds_write2_b64 v53, v[38:39], v[40:41] offset0:106 offset1:223
	s_waitcnt lgkmcnt(0)
	s_barrier
	s_and_saveexec_b64 s[2:3], s[0:1]
	s_cbranch_execz .LBB0_9
; %bb.8:
	v_mov_b32_e32 v53, s9
	v_add_co_u32_e32 v66, vcc, s8, v59
	v_addc_co_u32_e32 v67, vcc, 0, v53, vcc
	v_add_co_u32_e32 v53, vcc, 0x15f0, v66
	v_addc_co_u32_e32 v54, vcc, 0, v67, vcc
	;; [unrolled: 2-line block ×3, first 2 shown]
	global_load_dwordx2 v[57:58], v[55:56], off offset:1520
	global_load_dwordx2 v[86:87], v[53:54], off offset:432
	;; [unrolled: 1-line block ×3, first 2 shown]
	s_movk_i32 s12, 0x2000
	v_add_co_u32_e32 v55, vcc, s12, v66
	global_load_dwordx2 v[90:91], v[53:54], off offset:1296
	global_load_dwordx2 v[92:93], v[53:54], off offset:1728
	;; [unrolled: 1-line block ×4, first 2 shown]
	v_addc_co_u32_e32 v56, vcc, 0, v67, vcc
	global_load_dwordx2 v[98:99], v[53:54], off offset:3024
	global_load_dwordx2 v[100:101], v[53:54], off offset:3456
	;; [unrolled: 1-line block ×6, first 2 shown]
	ds_read_b64 v[53:54], v61
	v_add_u32_e32 v110, 0x800, v59
	v_add_u32_e32 v111, 0xc00, v59
	;; [unrolled: 1-line block ×3, first 2 shown]
	s_waitcnt vmcnt(12) lgkmcnt(0)
	v_mul_f32_e32 v55, v54, v58
	v_mul_f32_e32 v56, v53, v58
	v_fma_f32 v55, v53, v57, -v55
	v_fmac_f32_e32 v56, v54, v57
	ds_write_b64 v61, v[55:56]
	ds_read2_b64 v[53:56], v59 offset0:54 offset1:108
	ds_read2_b64 v[66:69], v59 offset0:162 offset1:216
	ds_read2_b64 v[70:73], v110 offset0:14 offset1:68
	ds_read2_b64 v[74:77], v110 offset0:122 offset1:176
	ds_read2_b64 v[78:81], v111 offset0:102 offset1:156
	ds_read2_b64 v[82:85], v112 offset0:82 offset1:136
	s_waitcnt vmcnt(11) lgkmcnt(5)
	v_mul_f32_e32 v57, v54, v87
	v_mul_f32_e32 v58, v53, v87
	s_waitcnt vmcnt(10)
	v_mul_f32_e32 v113, v56, v89
	v_mul_f32_e32 v87, v55, v89
	s_waitcnt vmcnt(9) lgkmcnt(4)
	v_mul_f32_e32 v114, v67, v91
	v_mul_f32_e32 v89, v66, v91
	s_waitcnt vmcnt(8)
	v_mul_f32_e32 v115, v69, v93
	v_mul_f32_e32 v91, v68, v93
	;; [unrolled: 6-line block ×4, first 2 shown]
	s_waitcnt vmcnt(1) lgkmcnt(1)
	v_mul_f32_e32 v120, v79, v107
	v_mul_f32_e32 v101, v78, v107
	;; [unrolled: 1-line block ×4, first 2 shown]
	s_waitcnt lgkmcnt(0)
	v_mul_f32_e32 v103, v83, v105
	v_fma_f32 v57, v53, v86, -v57
	v_fmac_f32_e32 v58, v54, v86
	v_fma_f32 v86, v55, v88, -v113
	v_fmac_f32_e32 v87, v56, v88
	v_mul_f32_e32 v54, v82, v105
	s_waitcnt vmcnt(0)
	v_mul_f32_e32 v55, v85, v109
	v_mul_f32_e32 v56, v84, v109
	v_fma_f32 v53, v82, v104, -v103
	v_fmac_f32_e32 v54, v83, v104
	v_fma_f32 v55, v84, v108, -v55
	v_fmac_f32_e32 v56, v85, v108
	v_fma_f32 v88, v66, v90, -v114
	v_fmac_f32_e32 v89, v67, v90
	v_fma_f32 v90, v68, v92, -v115
	v_fmac_f32_e32 v91, v69, v92
	v_fma_f32 v92, v70, v94, -v116
	v_fmac_f32_e32 v93, v71, v94
	v_fma_f32 v94, v72, v96, -v117
	v_fmac_f32_e32 v95, v73, v96
	v_fma_f32 v96, v74, v98, -v118
	v_fmac_f32_e32 v97, v75, v98
	v_fma_f32 v98, v76, v100, -v119
	v_fmac_f32_e32 v99, v77, v100
	v_fma_f32 v100, v78, v106, -v120
	v_fmac_f32_e32 v101, v79, v106
	v_fma_f32 v106, v80, v102, -v121
	v_fmac_f32_e32 v107, v81, v102
	ds_write2_b64 v59, v[57:58], v[86:87] offset0:54 offset1:108
	ds_write2_b64 v59, v[88:89], v[90:91] offset0:162 offset1:216
	ds_write2_b64 v110, v[92:93], v[94:95] offset0:14 offset1:68
	ds_write2_b64 v110, v[96:97], v[98:99] offset0:122 offset1:176
	ds_write2_b64 v111, v[100:101], v[106:107] offset0:102 offset1:156
	ds_write2_b64 v112, v[53:54], v[55:56] offset0:82 offset1:136
.LBB0_9:
	s_or_b64 exec, exec, s[2:3]
	s_waitcnt lgkmcnt(0)
	s_barrier
	s_and_saveexec_b64 s[2:3], s[0:1]
	s_cbranch_execz .LBB0_11
; %bb.10:
	v_add_u32_e32 v0, 0x400, v61
	ds_read2_b64 v[36:39], v61 offset1:54
	ds_read2_b64 v[44:47], v61 offset0:108 offset1:162
	ds_read2_b64 v[40:43], v0 offset0:88 offset1:142
	v_add_u32_e32 v0, 0x800, v61
	ds_read2_b64 v[8:11], v0 offset0:68 offset1:122
	ds_read2_b64 v[4:7], v0 offset0:176 offset1:230
	v_add_u32_e32 v0, 0x1000, v61
	ds_read2_b64 v[0:3], v0 offset0:28 offset1:82
	ds_read_b64 v[49:50], v61 offset:5184
.LBB0_11:
	s_or_b64 exec, exec, s[2:3]
	s_waitcnt lgkmcnt(0)
	s_barrier
	s_and_saveexec_b64 s[2:3], s[0:1]
	s_cbranch_execz .LBB0_13
; %bb.12:
	v_add_f32_e32 v80, v50, v39
	v_mul_f32_e32 v81, 0xbf788fa5, v80
	v_add_f32_e32 v82, v3, v45
	v_sub_f32_e32 v66, v38, v49
	v_mov_b32_e32 v53, v81
	v_mul_f32_e32 v83, 0x3f62ad3f, v82
	v_fmac_f32_e32 v53, 0x3e750f2a, v66
	v_sub_f32_e32 v67, v44, v2
	v_mov_b32_e32 v54, v83
	v_add_f32_e32 v84, v1, v47
	v_add_f32_e32 v53, v37, v53
	v_fmac_f32_e32 v54, 0xbeedf032, v67
	v_mul_f32_e32 v85, 0xbf3f9e67, v84
	v_add_f32_e32 v53, v54, v53
	v_sub_f32_e32 v68, v46, v0
	v_mov_b32_e32 v54, v85
	v_add_f32_e32 v86, v7, v41
	v_fmac_f32_e32 v54, 0x3f29c268, v68
	v_mul_f32_e32 v87, 0x3f116cb1, v86
	v_add_f32_e32 v53, v54, v53
	v_sub_f32_e32 v69, v40, v6
	v_mov_b32_e32 v54, v87
	;; [unrolled: 6-line block ×4, first 2 shown]
	v_sub_f32_e32 v92, v39, v50
	v_fmac_f32_e32 v54, 0xbf7e222b, v71
	v_mul_f32_e32 v93, 0xbe750f2a, v92
	v_sub_f32_e32 v94, v45, v3
	v_add_f32_e32 v54, v54, v53
	v_add_f32_e32 v72, v49, v38
	v_mov_b32_e32 v53, v93
	v_mul_f32_e32 v95, 0x3eedf032, v94
	v_fmac_f32_e32 v53, 0xbf788fa5, v72
	v_add_f32_e32 v73, v2, v44
	v_mov_b32_e32 v55, v95
	v_sub_f32_e32 v96, v47, v1
	v_add_f32_e32 v53, v36, v53
	v_fmac_f32_e32 v55, 0x3f62ad3f, v73
	v_mul_f32_e32 v97, 0xbf29c268, v96
	v_add_f32_e32 v53, v55, v53
	v_add_f32_e32 v74, v0, v46
	v_mov_b32_e32 v55, v97
	v_sub_f32_e32 v98, v41, v7
	v_fmac_f32_e32 v55, 0xbf3f9e67, v74
	v_mul_f32_e32 v99, 0x3f52af12, v98
	v_add_f32_e32 v53, v55, v53
	v_add_f32_e32 v75, v6, v40
	v_mov_b32_e32 v55, v99
	v_sub_f32_e32 v100, v43, v5
	;; [unrolled: 6-line block ×3, first 2 shown]
	v_fmac_f32_e32 v55, 0xbeb58ec6, v76
	v_mul_f32_e32 v103, 0x3f7e222b, v102
	v_add_f32_e32 v53, v55, v53
	v_add_f32_e32 v77, v10, v8
	v_mov_b32_e32 v55, v103
	v_fmac_f32_e32 v55, 0x3df6dbef, v77
	v_mul_f32_e32 v104, 0xbf3f9e67, v80
	v_add_f32_e32 v53, v55, v53
	v_mov_b32_e32 v55, v104
	v_mul_f32_e32 v105, 0x3df6dbef, v82
	v_fmac_f32_e32 v55, 0x3f29c268, v66
	v_mov_b32_e32 v56, v105
	v_add_f32_e32 v55, v37, v55
	v_fmac_f32_e32 v56, 0xbf7e222b, v67
	v_mul_f32_e32 v106, 0x3f116cb1, v84
	v_add_f32_e32 v55, v56, v55
	v_mov_b32_e32 v56, v106
	v_fmac_f32_e32 v56, 0x3f52af12, v68
	v_mul_f32_e32 v107, 0xbf788fa5, v86
	v_add_f32_e32 v55, v56, v55
	v_mov_b32_e32 v56, v107
	v_fmac_f32_e32 v56, 0xbe750f2a, v69
	v_mul_f32_e32 v108, 0x3f62ad3f, v88
	v_add_f32_e32 v55, v56, v55
	v_mov_b32_e32 v56, v108
	v_fmac_f32_e32 v56, 0xbeedf032, v70
	v_mul_f32_e32 v109, 0xbeb58ec6, v90
	v_add_f32_e32 v55, v56, v55
	v_mov_b32_e32 v56, v109
	v_fmac_f32_e32 v56, 0x3f6f5d39, v71
	v_mul_f32_e32 v110, 0xbf29c268, v92
	v_add_f32_e32 v56, v56, v55
	v_mov_b32_e32 v55, v110
	v_mul_f32_e32 v111, 0x3f7e222b, v94
	v_fmac_f32_e32 v55, 0xbf3f9e67, v72
	v_mov_b32_e32 v57, v111
	v_add_f32_e32 v55, v36, v55
	v_fmac_f32_e32 v57, 0x3df6dbef, v73
	v_mul_f32_e32 v112, 0xbf52af12, v96
	v_add_f32_e32 v55, v57, v55
	v_mov_b32_e32 v57, v112
	v_fmac_f32_e32 v57, 0x3f116cb1, v74
	v_mul_f32_e32 v113, 0x3e750f2a, v98
	v_add_f32_e32 v55, v57, v55
	v_mov_b32_e32 v57, v113
	v_fmac_f32_e32 v57, 0xbf788fa5, v75
	v_mul_f32_e32 v114, 0x3eedf032, v100
	v_add_f32_e32 v55, v57, v55
	v_mov_b32_e32 v57, v114
	v_fmac_f32_e32 v57, 0x3f62ad3f, v76
	v_mul_f32_e32 v115, 0xbf6f5d39, v102
	;; [unrolled: 24-line block ×3, first 2 shown]
	v_add_f32_e32 v57, v58, v57
	v_mov_b32_e32 v58, v121
	v_fmac_f32_e32 v58, 0xbf52af12, v71
	v_mul_f32_e32 v122, 0xbf6f5d39, v92
	v_add_f32_e32 v58, v58, v57
	v_mov_b32_e32 v57, v122
	v_mul_f32_e32 v123, 0x3f29c268, v94
	v_fmac_f32_e32 v57, 0xbeb58ec6, v72
	v_mov_b32_e32 v78, v123
	v_add_f32_e32 v57, v36, v57
	v_fmac_f32_e32 v78, 0xbf3f9e67, v73
	v_mul_f32_e32 v124, 0x3eedf032, v96
	v_add_f32_e32 v39, v39, v37
	v_add_f32_e32 v57, v78, v57
	v_mov_b32_e32 v78, v124
	v_add_f32_e32 v39, v45, v39
	v_fmac_f32_e32 v78, 0x3f62ad3f, v74
	v_mul_f32_e32 v125, 0xbf7e222b, v98
	v_add_f32_e32 v45, v47, v39
	v_add_f32_e32 v57, v78, v57
	v_mov_b32_e32 v78, v125
	v_add_f32_e32 v41, v41, v45
	v_fmac_f32_e32 v78, 0x3df6dbef, v75
	v_mul_f32_e32 v126, 0x3e750f2a, v100
	v_add_f32_e32 v43, v43, v41
	v_add_f32_e32 v57, v78, v57
	v_mov_b32_e32 v78, v126
	v_add_f32_e32 v38, v38, v36
	v_add_f32_e32 v9, v9, v43
	v_fmac_f32_e32 v78, 0xbf788fa5, v76
	v_mul_f32_e32 v127, 0x3f52af12, v102
	v_add_f32_e32 v38, v44, v38
	v_add_f32_e32 v9, v11, v9
	;; [unrolled: 1-line block ×3, first 2 shown]
	v_mov_b32_e32 v78, v127
	v_add_f32_e32 v38, v46, v38
	v_add_f32_e32 v5, v5, v9
	v_fmac_f32_e32 v78, 0x3f116cb1, v77
	v_mul_f32_e32 v128, 0x3df6dbef, v80
	v_add_f32_e32 v38, v40, v38
	v_add_f32_e32 v5, v7, v5
	;; [unrolled: 1-line block ×3, first 2 shown]
	v_mov_b32_e32 v78, v128
	v_mul_f32_e32 v129, 0xbf788fa5, v82
	v_add_f32_e32 v42, v42, v38
	v_add_f32_e32 v1, v1, v5
	v_fmac_f32_e32 v78, 0x3f7e222b, v66
	v_mov_b32_e32 v79, v129
	v_add_f32_e32 v1, v3, v1
	v_add_f32_e32 v3, v8, v42
	v_add_f32_e32 v78, v37, v78
	v_fmac_f32_e32 v79, 0x3e750f2a, v67
	v_mul_f32_e32 v130, 0xbeb58ec6, v84
	v_add_f32_e32 v3, v10, v3
	v_add_f32_e32 v78, v79, v78
	v_mov_b32_e32 v79, v130
	v_add_f32_e32 v3, v4, v3
	v_fmac_f32_e32 v79, 0xbf6f5d39, v68
	v_mul_f32_e32 v131, 0x3f62ad3f, v86
	v_add_f32_e32 v3, v6, v3
	v_add_f32_e32 v78, v79, v78
	v_mov_b32_e32 v79, v131
	v_add_f32_e32 v0, v0, v3
	v_fmac_f32_e32 v81, 0xbe750f2a, v66
	v_fmac_f32_e32 v79, 0xbeedf032, v69
	v_mul_f32_e32 v132, 0x3f116cb1, v88
	v_add_f32_e32 v0, v2, v0
	v_add_f32_e32 v2, v37, v81
	v_fmac_f32_e32 v83, 0x3eedf032, v67
	v_add_f32_e32 v78, v79, v78
	v_mov_b32_e32 v79, v132
	v_add_f32_e32 v2, v83, v2
	v_fmac_f32_e32 v85, 0xbf29c268, v68
	v_fmac_f32_e32 v79, 0x3f52af12, v70
	v_mul_f32_e32 v133, 0xbf3f9e67, v90
	v_add_f32_e32 v2, v85, v2
	v_fmac_f32_e32 v87, 0x3f52af12, v69
	v_add_f32_e32 v78, v79, v78
	v_mov_b32_e32 v79, v133
	v_add_f32_e32 v2, v87, v2
	v_fmac_f32_e32 v89, 0xbf6f5d39, v70
	v_fmac_f32_e32 v79, 0x3f29c268, v71
	v_mul_f32_e32 v134, 0xbf7e222b, v92
	s_mov_b32 s12, 0xbf788fa5
	v_add_f32_e32 v2, v89, v2
	v_fmac_f32_e32 v91, 0x3f7e222b, v71
	v_add_f32_e32 v79, v79, v78
	v_mov_b32_e32 v78, v134
	v_mul_f32_e32 v135, 0xbe750f2a, v94
	s_mov_b32 s14, 0x3f62ad3f
	v_add_f32_e32 v3, v91, v2
	v_fma_f32 v2, v72, s12, -v93
	v_fmac_f32_e32 v78, 0x3df6dbef, v72
	v_mov_b32_e32 v136, v135
	s_mov_b32 s13, 0xbf3f9e67
	v_add_f32_e32 v2, v36, v2
	v_fma_f32 v4, v73, s14, -v95
	v_add_f32_e32 v78, v36, v78
	v_fmac_f32_e32 v136, 0xbf788fa5, v73
	s_mov_b32 s15, 0x3f116cb1
	v_add_f32_e32 v2, v4, v2
	v_fma_f32 v4, v74, s13, -v97
	v_add_f32_e32 v78, v136, v78
	v_mul_f32_e32 v136, 0x3f6f5d39, v96
	s_mov_b32 s16, 0xbeb58ec6
	v_add_f32_e32 v2, v4, v2
	v_fma_f32 v4, v75, s15, -v99
	v_mov_b32_e32 v137, v136
	s_mov_b32 s17, 0x3df6dbef
	v_add_f32_e32 v2, v4, v2
	v_fma_f32 v4, v76, s16, -v101
	v_fmac_f32_e32 v137, 0xbeb58ec6, v74
	v_add_f32_e32 v2, v4, v2
	v_fma_f32 v4, v77, s17, -v103
	v_fmac_f32_e32 v104, 0xbf29c268, v66
	v_add_f32_e32 v78, v137, v78
	v_mul_f32_e32 v137, 0x3eedf032, v98
	v_add_f32_e32 v2, v4, v2
	v_add_f32_e32 v4, v37, v104
	v_fmac_f32_e32 v105, 0x3f7e222b, v67
	v_mov_b32_e32 v138, v137
	v_add_f32_e32 v4, v105, v4
	v_fmac_f32_e32 v106, 0xbf52af12, v68
	v_fmac_f32_e32 v138, 0x3f62ad3f, v75
	v_add_f32_e32 v4, v106, v4
	v_fmac_f32_e32 v107, 0x3e750f2a, v69
	v_add_f32_e32 v78, v138, v78
	v_mul_f32_e32 v138, 0xbf52af12, v100
	v_add_f32_e32 v4, v107, v4
	v_fmac_f32_e32 v108, 0x3eedf032, v70
	v_mov_b32_e32 v139, v138
	v_add_f32_e32 v4, v108, v4
	v_fmac_f32_e32 v109, 0xbf6f5d39, v71
	v_fmac_f32_e32 v139, 0x3f116cb1, v76
	v_add_f32_e32 v5, v109, v4
	v_fma_f32 v4, v72, s13, -v110
	v_add_f32_e32 v78, v139, v78
	v_mul_f32_e32 v139, 0xbf29c268, v102
	v_add_f32_e32 v4, v36, v4
	v_fma_f32 v6, v73, s17, -v111
	v_mov_b32_e32 v140, v139
	v_add_f32_e32 v4, v6, v4
	v_fma_f32 v6, v74, s15, -v112
	v_fmac_f32_e32 v140, 0xbf3f9e67, v77
	v_add_f32_e32 v4, v6, v4
	v_fma_f32 v6, v75, s12, -v113
	v_add_f32_e32 v78, v140, v78
	v_mul_f32_e32 v140, 0x3f116cb1, v80
	v_add_f32_e32 v4, v6, v4
	v_fma_f32 v6, v76, s14, -v114
	v_mov_b32_e32 v141, v140
	v_mul_f32_e32 v142, 0xbeb58ec6, v82
	v_add_f32_e32 v4, v6, v4
	v_fma_f32 v6, v77, s16, -v115
	v_fmac_f32_e32 v116, 0xbf6f5d39, v66
	v_fmac_f32_e32 v141, 0x3f52af12, v66
	v_mov_b32_e32 v143, v142
	v_add_f32_e32 v4, v6, v4
	v_add_f32_e32 v6, v37, v116
	v_fmac_f32_e32 v117, 0x3f29c268, v67
	v_add_f32_e32 v141, v37, v141
	v_fmac_f32_e32 v143, 0x3f6f5d39, v67
	;; [unrolled: 2-line block ×3, first 2 shown]
	v_add_f32_e32 v141, v143, v141
	v_mul_f32_e32 v143, 0xbf788fa5, v84
	v_add_f32_e32 v6, v118, v6
	v_fmac_f32_e32 v119, 0xbf7e222b, v69
	v_mov_b32_e32 v144, v143
	v_add_f32_e32 v6, v119, v6
	v_fmac_f32_e32 v120, 0x3e750f2a, v70
	v_fmac_f32_e32 v144, 0x3e750f2a, v68
	v_mul_f32_e32 v147, 0xbf52af12, v92
	v_add_f32_e32 v6, v120, v6
	v_fmac_f32_e32 v121, 0x3f52af12, v71
	v_add_f32_e32 v141, v144, v141
	v_mul_f32_e32 v144, 0xbf3f9e67, v86
	v_mov_b32_e32 v39, v147
	v_mul_f32_e32 v44, 0xbf6f5d39, v94
	v_add_f32_e32 v7, v121, v6
	v_fma_f32 v6, v72, s16, -v122
	v_mov_b32_e32 v145, v144
	v_fmac_f32_e32 v39, 0x3f116cb1, v72
	v_mov_b32_e32 v46, v44
	v_add_f32_e32 v6, v36, v6
	v_fma_f32 v8, v73, s13, -v123
	v_fmac_f32_e32 v145, 0xbf29c268, v69
	v_add_f32_e32 v39, v36, v39
	v_fmac_f32_e32 v46, 0xbeb58ec6, v73
	v_add_f32_e32 v6, v8, v6
	v_fma_f32 v8, v74, s14, -v124
	v_add_f32_e32 v141, v145, v141
	v_mul_f32_e32 v145, 0x3df6dbef, v88
	v_add_f32_e32 v39, v46, v39
	v_mul_f32_e32 v46, 0xbe750f2a, v96
	v_add_f32_e32 v6, v8, v6
	v_fma_f32 v8, v75, s17, -v125
	v_mov_b32_e32 v146, v145
	v_mov_b32_e32 v47, v46
	v_mul_f32_e32 v45, 0x3f29c268, v98
	v_add_f32_e32 v6, v8, v6
	v_fma_f32 v8, v76, s12, -v126
	v_fmac_f32_e32 v146, 0xbf7e222b, v70
	v_fmac_f32_e32 v47, 0xbf788fa5, v74
	v_mov_b32_e32 v38, v45
	v_add_f32_e32 v6, v8, v6
	v_fma_f32 v8, v77, s15, -v127
	v_fmac_f32_e32 v128, 0xbf7e222b, v66
	v_add_f32_e32 v141, v146, v141
	v_mul_f32_e32 v146, 0x3f62ad3f, v90
	v_add_f32_e32 v47, v47, v39
	v_fmac_f32_e32 v38, 0xbf3f9e67, v75
	v_add_f32_e32 v6, v8, v6
	v_add_f32_e32 v8, v37, v128
	v_fmac_f32_e32 v129, 0xbe750f2a, v67
	v_mov_b32_e32 v39, v146
	v_add_f32_e32 v38, v38, v47
	v_mul_f32_e32 v47, 0x3f7e222b, v100
	v_add_f32_e32 v8, v129, v8
	v_fmac_f32_e32 v130, 0x3f6f5d39, v68
	v_fmac_f32_e32 v39, 0xbeedf032, v71
	v_mov_b32_e32 v40, v47
	v_add_f32_e32 v8, v130, v8
	v_fmac_f32_e32 v131, 0x3eedf032, v69
	v_add_f32_e32 v39, v39, v141
	v_fmac_f32_e32 v40, 0x3df6dbef, v76
	v_mul_f32_e32 v141, 0x3eedf032, v102
	v_add_f32_e32 v8, v131, v8
	v_fmac_f32_e32 v132, 0xbf52af12, v70
	v_add_f32_e32 v38, v40, v38
	v_mov_b32_e32 v40, v141
	v_add_f32_e32 v8, v132, v8
	v_fmac_f32_e32 v133, 0xbf29c268, v71
	v_fmac_f32_e32 v40, 0x3f62ad3f, v77
	v_mul_f32_e32 v80, 0x3f62ad3f, v80
	v_add_f32_e32 v9, v133, v8
	v_fma_f32 v8, v72, s17, -v134
	v_add_f32_e32 v38, v40, v38
	v_mov_b32_e32 v40, v80
	v_mul_f32_e32 v82, 0x3f116cb1, v82
	v_add_f32_e32 v8, v36, v8
	v_fma_f32 v10, v73, s12, -v135
	v_fmac_f32_e32 v40, 0x3eedf032, v66
	v_mov_b32_e32 v41, v82
	v_add_f32_e32 v8, v10, v8
	v_fma_f32 v10, v74, s16, -v136
	v_add_f32_e32 v40, v37, v40
	v_fmac_f32_e32 v41, 0x3f52af12, v67
	v_mul_f32_e32 v84, 0x3df6dbef, v84
	v_add_f32_e32 v8, v10, v8
	v_fma_f32 v10, v75, s14, -v137
	v_add_f32_e32 v40, v41, v40
	v_mov_b32_e32 v41, v84
	v_add_f32_e32 v8, v10, v8
	v_fma_f32 v10, v76, s15, -v138
	v_fmac_f32_e32 v41, 0x3f7e222b, v68
	v_mul_f32_e32 v86, 0xbeb58ec6, v86
	v_add_f32_e32 v8, v10, v8
	v_fma_f32 v10, v77, s13, -v139
	v_fmac_f32_e32 v140, 0xbf52af12, v66
	v_add_f32_e32 v40, v41, v40
	v_mov_b32_e32 v41, v86
	v_add_f32_e32 v8, v10, v8
	v_add_f32_e32 v10, v37, v140
	v_fmac_f32_e32 v142, 0xbf6f5d39, v67
	v_fmac_f32_e32 v41, 0x3f6f5d39, v69
	v_mul_f32_e32 v88, 0xbf3f9e67, v88
	v_add_f32_e32 v10, v142, v10
	v_fmac_f32_e32 v143, 0xbe750f2a, v68
	v_add_f32_e32 v40, v41, v40
	v_mov_b32_e32 v41, v88
	v_add_f32_e32 v10, v143, v10
	v_fmac_f32_e32 v144, 0x3f29c268, v69
	v_fmac_f32_e32 v41, 0x3f29c268, v70
	v_mul_f32_e32 v92, 0xbeedf032, v92
	v_add_f32_e32 v10, v144, v10
	v_fmac_f32_e32 v145, 0x3f7e222b, v70
	v_add_f32_e32 v40, v41, v40
	v_mov_b32_e32 v41, v92
	v_mul_f32_e32 v94, 0xbf52af12, v94
	v_add_f32_e32 v10, v145, v10
	v_fmac_f32_e32 v146, 0x3eedf032, v71
	v_fmac_f32_e32 v41, 0x3f62ad3f, v72
	v_mov_b32_e32 v148, v94
	v_add_f32_e32 v11, v146, v10
	v_fma_f32 v10, v72, s15, -v147
	v_add_f32_e32 v41, v36, v41
	v_fmac_f32_e32 v148, 0x3f116cb1, v73
	v_mul_f32_e32 v96, 0xbf7e222b, v96
	v_add_f32_e32 v10, v36, v10
	v_fma_f32 v42, v73, s16, -v44
	v_add_f32_e32 v41, v148, v41
	v_mov_b32_e32 v148, v96
	v_add_f32_e32 v10, v42, v10
	v_fma_f32 v42, v74, s12, -v46
	v_fmac_f32_e32 v148, 0x3df6dbef, v74
	v_mul_f32_e32 v98, 0xbf6f5d39, v98
	v_add_f32_e32 v10, v42, v10
	v_fma_f32 v42, v75, s13, -v45
	v_add_f32_e32 v41, v148, v41
	v_mov_b32_e32 v148, v98
	v_add_f32_e32 v10, v42, v10
	v_fma_f32 v42, v76, s17, -v47
	v_fmac_f32_e32 v148, 0xbeb58ec6, v75
	v_mul_f32_e32 v100, 0xbf29c268, v100
	v_add_f32_e32 v10, v42, v10
	v_fma_f32 v42, v77, s14, -v141
	v_add_f32_e32 v41, v148, v41
	v_mov_b32_e32 v148, v100
	v_add_f32_e32 v10, v42, v10
	v_fma_f32 v42, v72, s14, -v92
	v_fmac_f32_e32 v148, 0xbf3f9e67, v76
	v_mul_f32_e32 v90, 0xbf788fa5, v90
	v_fmac_f32_e32 v80, 0xbeedf032, v66
	v_add_f32_e32 v36, v36, v42
	v_fma_f32 v42, v73, s15, -v94
	v_add_f32_e32 v148, v148, v41
	v_mov_b32_e32 v41, v90
	v_add_f32_e32 v37, v37, v80
	v_fmac_f32_e32 v82, 0xbf52af12, v67
	v_add_f32_e32 v36, v42, v36
	v_fma_f32 v42, v74, s17, -v96
	v_fmac_f32_e32 v41, 0x3e750f2a, v71
	v_mul_f32_e32 v102, 0xbe750f2a, v102
	v_add_f32_e32 v37, v82, v37
	v_fmac_f32_e32 v84, 0xbf7e222b, v68
	v_add_f32_e32 v36, v42, v36
	v_fma_f32 v42, v75, s16, -v98
	v_add_f32_e32 v41, v41, v40
	v_mov_b32_e32 v40, v102
	v_add_f32_e32 v37, v84, v37
	v_fmac_f32_e32 v86, 0xbf6f5d39, v69
	v_add_f32_e32 v36, v42, v36
	v_fma_f32 v42, v76, s13, -v100
	v_fmac_f32_e32 v40, 0xbf788fa5, v77
	v_add_f32_e32 v37, v86, v37
	v_fmac_f32_e32 v88, 0xbf29c268, v70
	v_add_f32_e32 v36, v42, v36
	v_fma_f32 v42, v77, s12, -v102
	v_add_f32_e32 v40, v40, v148
	v_add_f32_e32 v1, v50, v1
	;; [unrolled: 1-line block ×4, first 2 shown]
	v_fmac_f32_e32 v90, 0xbe750f2a, v71
	v_add_f32_e32 v36, v42, v36
	v_lshlrev_b32_e32 v42, 3, v62
	v_add_f32_e32 v37, v90, v37
	ds_write2_b64 v42, v[0:1], v[40:41] offset1:1
	ds_write2_b64 v42, v[38:39], v[78:79] offset0:2 offset1:3
	ds_write2_b64 v42, v[57:58], v[55:56] offset0:4 offset1:5
	;; [unrolled: 1-line block ×5, first 2 shown]
	ds_write_b64 v42, v[36:37] offset:96
.LBB0_13:
	s_or_b64 exec, exec, s[2:3]
	v_add_u32_e32 v36, 0x400, v61
	v_add_u32_e32 v37, 0xc00, v61
	s_waitcnt lgkmcnt(0)
	s_barrier
	ds_read2_b64 v[0:3], v36 offset0:106 offset1:223
	ds_read2_b64 v[4:7], v61 offset1:117
	ds_read2_b64 v[8:11], v37 offset0:84 offset1:201
	s_waitcnt lgkmcnt(0)
	s_barrier
	v_mul_f32_e32 v38, v17, v1
	v_fmac_f32_e32 v38, v16, v0
	v_mul_f32_e32 v0, v17, v0
	v_mul_f32_e32 v17, v19, v9
	v_fma_f32 v16, v16, v1, -v0
	v_fmac_f32_e32 v17, v18, v8
	v_mul_f32_e32 v0, v19, v8
	v_fma_f32 v8, v18, v9, -v0
	v_mul_f32_e32 v18, v13, v3
	v_mul_f32_e32 v0, v13, v2
	v_add_f32_e32 v1, v38, v17
	v_fmac_f32_e32 v18, v12, v2
	v_fma_f32 v12, v12, v3, -v0
	v_mul_f32_e32 v0, v15, v10
	v_fma_f32 v2, -0.5, v1, v4
	v_mul_f32_e32 v13, v15, v11
	v_fma_f32 v11, v14, v11, -v0
	v_add_f32_e32 v0, v4, v38
	v_sub_f32_e32 v1, v16, v8
	v_mov_b32_e32 v4, v2
	v_add_f32_e32 v3, v16, v8
	v_fmac_f32_e32 v13, v14, v10
	v_fmac_f32_e32 v4, 0xbf5db3d7, v1
	;; [unrolled: 1-line block ×3, first 2 shown]
	v_add_f32_e32 v1, v5, v16
	v_fma_f32 v3, -0.5, v3, v5
	v_add_f32_e32 v1, v1, v8
	v_sub_f32_e32 v8, v38, v17
	v_mov_b32_e32 v5, v3
	v_add_f32_e32 v9, v18, v13
	v_fmac_f32_e32 v5, 0x3f5db3d7, v8
	v_fmac_f32_e32 v3, 0xbf5db3d7, v8
	v_add_f32_e32 v8, v6, v18
	v_fma_f32 v6, -0.5, v9, v6
	v_sub_f32_e32 v9, v12, v11
	v_mov_b32_e32 v10, v6
	v_fmac_f32_e32 v10, 0xbf5db3d7, v9
	v_fmac_f32_e32 v6, 0x3f5db3d7, v9
	v_add_f32_e32 v9, v7, v12
	v_add_f32_e32 v9, v9, v11
	;; [unrolled: 1-line block ×3, first 2 shown]
	v_fmac_f32_e32 v7, -0.5, v11
	v_sub_f32_e32 v12, v18, v13
	v_mov_b32_e32 v11, v7
	v_add_f32_e32 v0, v0, v17
	v_add_f32_e32 v8, v8, v13
	v_fmac_f32_e32 v11, 0x3f5db3d7, v12
	v_fmac_f32_e32 v7, 0xbf5db3d7, v12
	ds_write2_b64 v64, v[0:1], v[4:5] offset1:13
	ds_write_b64 v64, v[2:3] offset:208
	ds_write2_b64 v63, v[8:9], v[10:11] offset1:13
	ds_write_b64 v63, v[6:7] offset:208
	s_waitcnt lgkmcnt(0)
	s_barrier
	ds_read2_b64 v[0:3], v61 offset1:117
	ds_read2_b64 v[4:7], v36 offset0:106 offset1:223
	ds_read2_b64 v[8:11], v37 offset0:84 offset1:201
	s_waitcnt lgkmcnt(0)
	s_barrier
	v_mul_f32_e32 v12, v25, v3
	v_fmac_f32_e32 v12, v24, v2
	v_mul_f32_e32 v2, v25, v2
	v_fma_f32 v13, v24, v3, -v2
	v_mul_f32_e32 v2, v27, v5
	v_mul_f32_e32 v3, v27, v4
	v_fmac_f32_e32 v2, v26, v4
	v_fma_f32 v3, v26, v5, -v3
	v_mul_f32_e32 v4, v21, v7
	v_mul_f32_e32 v5, v21, v6
	v_fmac_f32_e32 v4, v20, v6
	;; [unrolled: 4-line block ×3, first 2 shown]
	v_fma_f32 v7, v22, v9, -v7
	v_mul_f32_e32 v9, v52, v10
	v_mul_f32_e32 v8, v52, v11
	v_fma_f32 v9, v51, v11, -v9
	v_add_f32_e32 v11, v2, v6
	v_fma_f32 v11, -0.5, v11, v0
	v_fmac_f32_e32 v8, v51, v10
	v_add_f32_e32 v10, v0, v2
	v_sub_f32_e32 v0, v3, v7
	v_mov_b32_e32 v14, v11
	v_fmac_f32_e32 v14, 0xbf5db3d7, v0
	v_fmac_f32_e32 v11, 0x3f5db3d7, v0
	v_add_f32_e32 v0, v1, v3
	v_add_f32_e32 v15, v0, v7
	;; [unrolled: 1-line block ×3, first 2 shown]
	v_fma_f32 v16, -0.5, v0, v1
	v_sub_f32_e32 v0, v2, v6
	v_mov_b32_e32 v17, v16
	v_fmac_f32_e32 v17, 0x3f5db3d7, v0
	v_fmac_f32_e32 v16, 0xbf5db3d7, v0
	v_add_f32_e32 v0, v12, v4
	v_add_f32_e32 v10, v10, v6
	;; [unrolled: 1-line block ×4, first 2 shown]
	v_fmac_f32_e32 v12, -0.5, v0
	v_sub_f32_e32 v0, v5, v9
	v_mov_b32_e32 v3, v12
	v_fmac_f32_e32 v3, 0xbf5db3d7, v0
	v_fmac_f32_e32 v12, 0x3f5db3d7, v0
	v_add_f32_e32 v0, v13, v5
	v_add_f32_e32 v7, v0, v9
	;; [unrolled: 1-line block ×3, first 2 shown]
	v_fmac_f32_e32 v13, -0.5, v0
	v_sub_f32_e32 v0, v4, v8
	v_mov_b32_e32 v5, v13
	v_fmac_f32_e32 v5, 0x3f5db3d7, v0
	v_fmac_f32_e32 v13, 0xbf5db3d7, v0
	v_mul_f32_e32 v8, 0xbf5db3d7, v5
	v_mul_f32_e32 v9, 0xbf5db3d7, v13
	v_mul_f32_e32 v18, 0.5, v5
	v_mul_f32_e32 v13, -0.5, v13
	v_fmac_f32_e32 v8, 0.5, v3
	v_fmac_f32_e32 v9, -0.5, v12
	v_fmac_f32_e32 v18, 0x3f5db3d7, v3
	v_fmac_f32_e32 v13, 0x3f5db3d7, v12
	v_add_f32_e32 v0, v10, v6
	v_add_f32_e32 v2, v14, v8
	;; [unrolled: 1-line block ×6, first 2 shown]
	v_sub_f32_e32 v6, v10, v6
	v_sub_f32_e32 v8, v14, v8
	;; [unrolled: 1-line block ×6, first 2 shown]
	ds_write2_b64 v65, v[0:1], v[2:3] offset1:39
	ds_write2_b64 v65, v[4:5], v[6:7] offset0:78 offset1:117
	ds_write2_b64 v65, v[8:9], v[10:11] offset0:156 offset1:195
	s_waitcnt lgkmcnt(0)
	s_barrier
	ds_read2_b64 v[0:3], v36 offset0:106 offset1:223
	ds_read2_b64 v[4:7], v61 offset1:117
	ds_read2_b64 v[8:11], v37 offset0:84 offset1:201
	s_waitcnt lgkmcnt(2)
	v_mul_f32_e32 v12, v29, v1
	v_fmac_f32_e32 v12, v28, v0
	v_mul_f32_e32 v0, v29, v0
	s_waitcnt lgkmcnt(0)
	v_mul_f32_e32 v14, v31, v9
	v_fma_f32 v13, v28, v1, -v0
	v_fmac_f32_e32 v14, v30, v8
	v_mul_f32_e32 v0, v31, v8
	v_fma_f32 v8, v30, v9, -v0
	v_mul_f32_e32 v15, v33, v3
	v_mul_f32_e32 v0, v33, v2
	v_add_f32_e32 v1, v12, v14
	v_fmac_f32_e32 v15, v32, v2
	v_fma_f32 v16, v32, v3, -v0
	v_mul_f32_e32 v0, v35, v10
	v_fma_f32 v2, -0.5, v1, v4
	v_mul_f32_e32 v17, v35, v11
	v_fma_f32 v11, v34, v11, -v0
	v_add_f32_e32 v0, v4, v12
	v_sub_f32_e32 v1, v13, v8
	v_mov_b32_e32 v4, v2
	v_add_f32_e32 v3, v13, v8
	v_fmac_f32_e32 v17, v34, v10
	v_fmac_f32_e32 v4, 0xbf5db3d7, v1
	;; [unrolled: 1-line block ×3, first 2 shown]
	v_add_f32_e32 v1, v5, v13
	v_fma_f32 v3, -0.5, v3, v5
	v_add_f32_e32 v1, v1, v8
	v_sub_f32_e32 v8, v12, v14
	v_mov_b32_e32 v5, v3
	v_add_f32_e32 v9, v15, v17
	v_fmac_f32_e32 v5, 0x3f5db3d7, v8
	v_fmac_f32_e32 v3, 0xbf5db3d7, v8
	v_add_f32_e32 v8, v6, v15
	v_fma_f32 v6, -0.5, v9, v6
	v_sub_f32_e32 v9, v16, v11
	v_mov_b32_e32 v10, v6
	v_fmac_f32_e32 v10, 0xbf5db3d7, v9
	v_fmac_f32_e32 v6, 0x3f5db3d7, v9
	v_add_f32_e32 v9, v7, v16
	v_add_f32_e32 v9, v9, v11
	;; [unrolled: 1-line block ×3, first 2 shown]
	v_fmac_f32_e32 v7, -0.5, v11
	v_add_f32_e32 v0, v0, v14
	v_add_f32_e32 v8, v8, v17
	v_sub_f32_e32 v12, v15, v17
	v_mov_b32_e32 v11, v7
	v_fmac_f32_e32 v11, 0x3f5db3d7, v12
	v_fmac_f32_e32 v7, 0xbf5db3d7, v12
	ds_write2_b64 v61, v[0:1], v[8:9] offset1:117
	ds_write2_b64 v36, v[4:5], v[10:11] offset0:106 offset1:223
	ds_write2_b64 v37, v[2:3], v[6:7] offset0:84 offset1:201
	s_waitcnt lgkmcnt(0)
	s_barrier
	s_and_b64 exec, exec, s[0:1]
	s_cbranch_execz .LBB0_15
; %bb.14:
	global_load_dwordx2 v[8:9], v59, s[8:9]
	global_load_dwordx2 v[10:11], v59, s[8:9] offset:432
	global_load_dwordx2 v[12:13], v59, s[8:9] offset:864
	global_load_dwordx2 v[14:15], v59, s[8:9] offset:1296
	ds_read_b64 v[18:19], v61
	ds_read2_b64 v[0:3], v59 offset0:54 offset1:108
	ds_read2_b64 v[4:7], v59 offset0:162 offset1:216
	global_load_dwordx2 v[22:23], v59, s[8:9] offset:1728
	global_load_dwordx2 v[24:25], v59, s[8:9] offset:2160
	;; [unrolled: 1-line block ×5, first 2 shown]
	v_mad_u64_u32 v[16:17], s[0:1], s6, v48, 0
	v_mov_b32_e32 v32, s9
	v_mad_u64_u32 v[20:21], s[2:3], s4, v60, 0
	v_add_co_u32_e32 v33, vcc, s8, v59
	s_mul_hi_u32 s6, s4, 0x1b0
	s_mul_i32 s2, s4, 0x1b0
	s_movk_i32 s4, 0x1000
	v_addc_co_u32_e32 v34, vcc, 0, v32, vcc
	s_mul_i32 s3, s5, 0x1b0
	v_add_co_u32_e32 v32, vcc, s4, v33
	s_add_i32 s3, s6, s3
	v_addc_co_u32_e32 v33, vcc, 0, v34, vcc
	s_waitcnt lgkmcnt(2)
	v_mad_u64_u32 v[34:35], s[6:7], s7, v48, v[17:18]
	v_mov_b32_e32 v40, s11
	v_mov_b32_e32 v41, s3
	;; [unrolled: 1-line block ×3, first 2 shown]
	v_lshlrev_b64 v[16:17], 3, v[16:17]
	s_mov_b32 s0, 0xc201756d
	v_add_co_u32_e32 v16, vcc, s10, v16
	v_addc_co_u32_e32 v17, vcc, v40, v17, vcc
	s_mov_b32 s1, 0x3f5756ca
	v_mov_b32_e32 v42, s3
	s_waitcnt vmcnt(8)
	v_mul_f32_e32 v34, v19, v9
	v_mul_f32_e32 v9, v18, v9
	s_waitcnt vmcnt(6) lgkmcnt(1)
	v_mul_f32_e32 v40, v3, v13
	s_waitcnt vmcnt(4)
	v_mad_u64_u32 v[35:36], s[4:5], s5, v60, v[21:22]
	v_mul_f32_e32 v13, v2, v13
	v_fmac_f32_e32 v34, v18, v8
	v_mov_b32_e32 v21, v35
	v_lshlrev_b64 v[20:21], 3, v[20:21]
	v_mul_f32_e32 v35, v1, v11
	v_add_co_u32_e32 v16, vcc, v16, v20
	v_addc_co_u32_e32 v17, vcc, v17, v21, vcc
	v_add_co_u32_e32 v20, vcc, s2, v16
	v_mul_f32_e32 v11, v0, v11
	v_fma_f32 v8, v8, v19, -v9
	v_addc_co_u32_e32 v21, vcc, v17, v41, vcc
	s_waitcnt lgkmcnt(0)
	v_mul_f32_e32 v41, v5, v15
	v_mul_f32_e32 v15, v4, v15
	v_fmac_f32_e32 v35, v0, v10
	v_fma_f32 v9, v10, v1, -v11
	v_fmac_f32_e32 v40, v2, v12
	v_fma_f32 v12, v12, v3, -v13
	v_cvt_f64_f32_e32 v[0:1], v34
	v_cvt_f64_f32_e32 v[2:3], v8
	v_fmac_f32_e32 v41, v4, v14
	v_fma_f32 v18, v14, v5, -v15
	v_cvt_f64_f32_e32 v[4:5], v35
	v_cvt_f64_f32_e32 v[8:9], v9
	v_mul_f64 v[0:1], v[0:1], s[0:1]
	v_mul_f64 v[2:3], v[2:3], s[0:1]
	v_cvt_f64_f32_e32 v[12:13], v12
	v_mul_f64 v[4:5], v[4:5], s[0:1]
	v_mul_f64 v[8:9], v[8:9], s[0:1]
	global_load_dwordx2 v[36:37], v[32:33], off offset:224
	global_load_dwordx2 v[38:39], v[32:33], off offset:656
	v_mul_f64 v[12:13], v[12:13], s[0:1]
	v_cvt_f64_f32_e32 v[10:11], v40
	v_cvt_f32_f64_e32 v0, v[0:1]
	v_cvt_f32_f64_e32 v1, v[2:3]
	v_cvt_f64_f32_e32 v[14:15], v41
	v_cvt_f32_f64_e32 v2, v[4:5]
	v_cvt_f32_f64_e32 v3, v[8:9]
	global_store_dwordx2 v[16:17], v[0:1], off
	global_store_dwordx2 v[20:21], v[2:3], off
	v_cvt_f32_f64_e32 v5, v[12:13]
	global_load_dwordx2 v[12:13], v59, s[8:9] offset:3888
	v_mul_f64 v[10:11], v[10:11], s[0:1]
	v_cvt_f64_f32_e32 v[18:19], v18
	v_mul_f64 v[14:15], v[14:15], s[0:1]
	v_mul_f32_e32 v0, v7, v23
	v_add_co_u32_e32 v8, vcc, s2, v20
	v_mul_f64 v[18:19], v[18:19], s[0:1]
	v_fmac_f32_e32 v0, v6, v22
	v_cvt_f32_f64_e32 v4, v[10:11]
	v_addc_co_u32_e32 v9, vcc, v21, v42, vcc
	v_cvt_f64_f32_e32 v[10:11], v0
	v_mul_f32_e32 v0, v6, v23
	global_store_dwordx2 v[8:9], v[4:5], off
	v_cvt_f32_f64_e32 v4, v[14:15]
	v_fma_f32 v0, v22, v7, -v0
	v_add_u32_e32 v15, 0x800, v59
	v_cvt_f64_f32_e32 v[6:7], v0
	ds_read2_b64 v[0:3], v15 offset0:14 offset1:68
	v_cvt_f32_f64_e32 v5, v[18:19]
	v_mov_b32_e32 v14, s3
	v_add_co_u32_e32 v8, vcc, s2, v8
	v_addc_co_u32_e32 v9, vcc, v9, v14, vcc
	global_store_dwordx2 v[8:9], v[4:5], off
	v_mul_f64 v[4:5], v[10:11], s[0:1]
	s_waitcnt vmcnt(10) lgkmcnt(0)
	v_mul_f32_e32 v10, v1, v25
	v_mul_f64 v[6:7], v[6:7], s[0:1]
	v_fmac_f32_e32 v10, v0, v24
	v_mul_f32_e32 v0, v0, v25
	v_fma_f32 v0, v24, v1, -v0
	v_cvt_f64_f32_e32 v[0:1], v0
	v_cvt_f64_f32_e32 v[10:11], v10
	v_cvt_f32_f64_e32 v4, v[4:5]
	v_add_co_u32_e32 v8, vcc, s2, v8
	v_mul_f64 v[0:1], v[0:1], s[0:1]
	v_cvt_f32_f64_e32 v5, v[6:7]
	v_mul_f64 v[6:7], v[10:11], s[0:1]
	v_mov_b32_e32 v10, s3
	v_addc_co_u32_e32 v9, vcc, v9, v10, vcc
	global_store_dwordx2 v[8:9], v[4:5], off
	v_add_co_u32_e32 v8, vcc, s2, v8
	v_cvt_f32_f64_e32 v5, v[0:1]
	s_waitcnt vmcnt(10)
	v_mul_f32_e32 v0, v3, v27
	v_fmac_f32_e32 v0, v2, v26
	v_cvt_f32_f64_e32 v4, v[6:7]
	v_cvt_f64_f32_e32 v[6:7], v0
	v_mul_f32_e32 v0, v2, v27
	v_fma_f32 v0, v26, v3, -v0
	v_cvt_f64_f32_e32 v[10:11], v0
	ds_read2_b64 v[0:3], v15 offset0:122 offset1:176
	v_addc_co_u32_e32 v9, vcc, v9, v14, vcc
	global_store_dwordx2 v[8:9], v[4:5], off
	v_mul_f64 v[4:5], v[6:7], s[0:1]
	v_mul_f64 v[6:7], v[10:11], s[0:1]
	s_waitcnt vmcnt(10) lgkmcnt(0)
	v_mul_f32_e32 v10, v1, v29
	v_fmac_f32_e32 v10, v0, v28
	v_mul_f32_e32 v0, v0, v29
	v_fma_f32 v0, v28, v1, -v0
	v_cvt_f64_f32_e32 v[0:1], v0
	v_cvt_f64_f32_e32 v[10:11], v10
	v_cvt_f32_f64_e32 v4, v[4:5]
	v_cvt_f32_f64_e32 v5, v[6:7]
	v_mul_f64 v[0:1], v[0:1], s[0:1]
	v_mul_f64 v[6:7], v[10:11], s[0:1]
	v_mov_b32_e32 v10, s3
	v_add_co_u32_e32 v8, vcc, s2, v8
	v_addc_co_u32_e32 v9, vcc, v9, v10, vcc
	global_store_dwordx2 v[8:9], v[4:5], off
	v_cvt_f32_f64_e32 v5, v[0:1]
	s_waitcnt vmcnt(10)
	v_mul_f32_e32 v0, v3, v31
	v_fmac_f32_e32 v0, v2, v30
	v_cvt_f32_f64_e32 v4, v[6:7]
	v_cvt_f64_f32_e32 v[6:7], v0
	v_mul_f32_e32 v0, v2, v31
	v_fma_f32 v0, v30, v3, -v0
	v_cvt_f64_f32_e32 v[10:11], v0
	v_add_u32_e32 v0, 0xc00, v59
	ds_read2_b64 v[0:3], v0 offset0:102 offset1:156
	v_add_co_u32_e32 v8, vcc, s2, v8
	v_addc_co_u32_e32 v9, vcc, v9, v14, vcc
	global_store_dwordx2 v[8:9], v[4:5], off
	v_mul_f64 v[4:5], v[6:7], s[0:1]
	v_mul_f64 v[6:7], v[10:11], s[0:1]
	s_waitcnt vmcnt(6) lgkmcnt(0)
	v_mul_f32_e32 v10, v1, v13
	v_fmac_f32_e32 v10, v0, v12
	v_mul_f32_e32 v0, v0, v13
	v_fma_f32 v0, v12, v1, -v0
	v_cvt_f64_f32_e32 v[0:1], v0
	v_cvt_f64_f32_e32 v[10:11], v10
	v_cvt_f32_f64_e32 v4, v[4:5]
	v_cvt_f32_f64_e32 v5, v[6:7]
	v_mul_f64 v[0:1], v[0:1], s[0:1]
	v_mul_f64 v[6:7], v[10:11], s[0:1]
	v_mov_b32_e32 v10, s3
	v_add_co_u32_e32 v8, vcc, s2, v8
	v_addc_co_u32_e32 v9, vcc, v9, v10, vcc
	global_store_dwordx2 v[8:9], v[4:5], off
	v_cvt_f32_f64_e32 v5, v[0:1]
	v_mul_f32_e32 v0, v3, v37
	v_fmac_f32_e32 v0, v2, v36
	v_cvt_f32_f64_e32 v4, v[6:7]
	v_cvt_f64_f32_e32 v[6:7], v0
	v_mul_f32_e32 v0, v2, v37
	v_fma_f32 v0, v36, v3, -v0
	v_cvt_f64_f32_e32 v[10:11], v0
	v_add_u32_e32 v0, 0x1000, v59
	ds_read2_b64 v[0:3], v0 offset0:82 offset1:136
	v_mov_b32_e32 v12, s3
	v_add_co_u32_e32 v8, vcc, s2, v8
	v_addc_co_u32_e32 v9, vcc, v9, v12, vcc
	global_store_dwordx2 v[8:9], v[4:5], off
	v_mul_f64 v[4:5], v[6:7], s[0:1]
	v_mul_f64 v[6:7], v[10:11], s[0:1]
	s_waitcnt lgkmcnt(0)
	v_mul_f32_e32 v10, v1, v39
	v_fmac_f32_e32 v10, v0, v38
	v_mul_f32_e32 v0, v0, v39
	v_fma_f32 v0, v38, v1, -v0
	v_cvt_f64_f32_e32 v[10:11], v10
	v_cvt_f64_f32_e32 v[0:1], v0
	v_cvt_f32_f64_e32 v4, v[4:5]
	v_cvt_f32_f64_e32 v5, v[6:7]
	v_mul_f64 v[6:7], v[10:11], s[0:1]
	v_mul_f64 v[0:1], v[0:1], s[0:1]
	v_mov_b32_e32 v10, s3
	v_add_co_u32_e32 v8, vcc, s2, v8
	v_addc_co_u32_e32 v9, vcc, v9, v10, vcc
	global_store_dwordx2 v[8:9], v[4:5], off
	v_cvt_f32_f64_e32 v4, v[6:7]
	v_cvt_f32_f64_e32 v5, v[0:1]
	v_mov_b32_e32 v1, s3
	v_add_co_u32_e32 v0, vcc, s2, v8
	v_addc_co_u32_e32 v1, vcc, v9, v1, vcc
	global_store_dwordx2 v[0:1], v[4:5], off
	global_load_dwordx2 v[4:5], v[32:33], off offset:1088
	v_add_co_u32_e32 v0, vcc, s2, v0
	s_waitcnt vmcnt(0)
	v_mul_f32_e32 v6, v3, v5
	v_fmac_f32_e32 v6, v2, v4
	v_mul_f32_e32 v2, v2, v5
	v_fma_f32 v2, v4, v3, -v2
	v_cvt_f64_f32_e32 v[6:7], v6
	v_cvt_f64_f32_e32 v[2:3], v2
	v_mul_f64 v[4:5], v[6:7], s[0:1]
	v_mul_f64 v[2:3], v[2:3], s[0:1]
	v_cvt_f32_f64_e32 v4, v[4:5]
	v_cvt_f32_f64_e32 v5, v[2:3]
	v_mov_b32_e32 v2, s3
	v_addc_co_u32_e32 v1, vcc, v1, v2, vcc
	global_store_dwordx2 v[0:1], v[4:5], off
.LBB0_15:
	s_endpgm
	.section	.rodata,"a",@progbits
	.p2align	6, 0x0
	.amdhsa_kernel bluestein_single_fwd_len702_dim1_sp_op_CI_CI
		.amdhsa_group_segment_fixed_size 5616
		.amdhsa_private_segment_fixed_size 0
		.amdhsa_kernarg_size 104
		.amdhsa_user_sgpr_count 6
		.amdhsa_user_sgpr_private_segment_buffer 1
		.amdhsa_user_sgpr_dispatch_ptr 0
		.amdhsa_user_sgpr_queue_ptr 0
		.amdhsa_user_sgpr_kernarg_segment_ptr 1
		.amdhsa_user_sgpr_dispatch_id 0
		.amdhsa_user_sgpr_flat_scratch_init 0
		.amdhsa_user_sgpr_private_segment_size 0
		.amdhsa_uses_dynamic_stack 0
		.amdhsa_system_sgpr_private_segment_wavefront_offset 0
		.amdhsa_system_sgpr_workgroup_id_x 1
		.amdhsa_system_sgpr_workgroup_id_y 0
		.amdhsa_system_sgpr_workgroup_id_z 0
		.amdhsa_system_sgpr_workgroup_info 0
		.amdhsa_system_vgpr_workitem_id 0
		.amdhsa_next_free_vgpr 149
		.amdhsa_next_free_sgpr 18
		.amdhsa_reserve_vcc 1
		.amdhsa_reserve_flat_scratch 0
		.amdhsa_float_round_mode_32 0
		.amdhsa_float_round_mode_16_64 0
		.amdhsa_float_denorm_mode_32 3
		.amdhsa_float_denorm_mode_16_64 3
		.amdhsa_dx10_clamp 1
		.amdhsa_ieee_mode 1
		.amdhsa_fp16_overflow 0
		.amdhsa_exception_fp_ieee_invalid_op 0
		.amdhsa_exception_fp_denorm_src 0
		.amdhsa_exception_fp_ieee_div_zero 0
		.amdhsa_exception_fp_ieee_overflow 0
		.amdhsa_exception_fp_ieee_underflow 0
		.amdhsa_exception_fp_ieee_inexact 0
		.amdhsa_exception_int_div_zero 0
	.end_amdhsa_kernel
	.text
.Lfunc_end0:
	.size	bluestein_single_fwd_len702_dim1_sp_op_CI_CI, .Lfunc_end0-bluestein_single_fwd_len702_dim1_sp_op_CI_CI
                                        ; -- End function
	.section	.AMDGPU.csdata,"",@progbits
; Kernel info:
; codeLenInByte = 11532
; NumSgprs: 22
; NumVgprs: 149
; ScratchSize: 0
; MemoryBound: 0
; FloatMode: 240
; IeeeMode: 1
; LDSByteSize: 5616 bytes/workgroup (compile time only)
; SGPRBlocks: 2
; VGPRBlocks: 37
; NumSGPRsForWavesPerEU: 22
; NumVGPRsForWavesPerEU: 149
; Occupancy: 1
; WaveLimiterHint : 1
; COMPUTE_PGM_RSRC2:SCRATCH_EN: 0
; COMPUTE_PGM_RSRC2:USER_SGPR: 6
; COMPUTE_PGM_RSRC2:TRAP_HANDLER: 0
; COMPUTE_PGM_RSRC2:TGID_X_EN: 1
; COMPUTE_PGM_RSRC2:TGID_Y_EN: 0
; COMPUTE_PGM_RSRC2:TGID_Z_EN: 0
; COMPUTE_PGM_RSRC2:TIDIG_COMP_CNT: 0
	.type	__hip_cuid_a70a010c07f73178,@object ; @__hip_cuid_a70a010c07f73178
	.section	.bss,"aw",@nobits
	.globl	__hip_cuid_a70a010c07f73178
__hip_cuid_a70a010c07f73178:
	.byte	0                               ; 0x0
	.size	__hip_cuid_a70a010c07f73178, 1

	.ident	"AMD clang version 19.0.0git (https://github.com/RadeonOpenCompute/llvm-project roc-6.4.0 25133 c7fe45cf4b819c5991fe208aaa96edf142730f1d)"
	.section	".note.GNU-stack","",@progbits
	.addrsig
	.addrsig_sym __hip_cuid_a70a010c07f73178
	.amdgpu_metadata
---
amdhsa.kernels:
  - .args:
      - .actual_access:  read_only
        .address_space:  global
        .offset:         0
        .size:           8
        .value_kind:     global_buffer
      - .actual_access:  read_only
        .address_space:  global
        .offset:         8
        .size:           8
        .value_kind:     global_buffer
      - .actual_access:  read_only
        .address_space:  global
        .offset:         16
        .size:           8
        .value_kind:     global_buffer
      - .actual_access:  read_only
        .address_space:  global
        .offset:         24
        .size:           8
        .value_kind:     global_buffer
      - .actual_access:  read_only
        .address_space:  global
        .offset:         32
        .size:           8
        .value_kind:     global_buffer
      - .offset:         40
        .size:           8
        .value_kind:     by_value
      - .address_space:  global
        .offset:         48
        .size:           8
        .value_kind:     global_buffer
      - .address_space:  global
        .offset:         56
        .size:           8
        .value_kind:     global_buffer
      - .address_space:  global
        .offset:         64
        .size:           8
        .value_kind:     global_buffer
      - .address_space:  global
        .offset:         72
        .size:           8
        .value_kind:     global_buffer
      - .offset:         80
        .size:           4
        .value_kind:     by_value
      - .address_space:  global
        .offset:         88
        .size:           8
        .value_kind:     global_buffer
      - .address_space:  global
        .offset:         96
        .size:           8
        .value_kind:     global_buffer
    .group_segment_fixed_size: 5616
    .kernarg_segment_align: 8
    .kernarg_segment_size: 104
    .language:       OpenCL C
    .language_version:
      - 2
      - 0
    .max_flat_workgroup_size: 117
    .name:           bluestein_single_fwd_len702_dim1_sp_op_CI_CI
    .private_segment_fixed_size: 0
    .sgpr_count:     22
    .sgpr_spill_count: 0
    .symbol:         bluestein_single_fwd_len702_dim1_sp_op_CI_CI.kd
    .uniform_work_group_size: 1
    .uses_dynamic_stack: false
    .vgpr_count:     149
    .vgpr_spill_count: 0
    .wavefront_size: 64
amdhsa.target:   amdgcn-amd-amdhsa--gfx906
amdhsa.version:
  - 1
  - 2
...

	.end_amdgpu_metadata
